;; amdgpu-corpus repo=ROCm/rocSPARSE kind=compiled arch=gfx1030 opt=O3
	.amdgcn_target "amdgcn-amd-amdhsa--gfx1030"
	.amdhsa_code_object_version 6
	.section	.text._ZN9rocsparseL17csrilu0_binsearchILj256ELj64ELb1EfEEviPKiS2_PT2_S2_PiS2_S5_S5_d21rocsparse_index_base_imNS_24const_host_device_scalarIfEENS7_IdEENS7_IS3_EEb,"axG",@progbits,_ZN9rocsparseL17csrilu0_binsearchILj256ELj64ELb1EfEEviPKiS2_PT2_S2_PiS2_S5_S5_d21rocsparse_index_base_imNS_24const_host_device_scalarIfEENS7_IdEENS7_IS3_EEb,comdat
	.globl	_ZN9rocsparseL17csrilu0_binsearchILj256ELj64ELb1EfEEviPKiS2_PT2_S2_PiS2_S5_S5_d21rocsparse_index_base_imNS_24const_host_device_scalarIfEENS7_IdEENS7_IS3_EEb ; -- Begin function _ZN9rocsparseL17csrilu0_binsearchILj256ELj64ELb1EfEEviPKiS2_PT2_S2_PiS2_S5_S5_d21rocsparse_index_base_imNS_24const_host_device_scalarIfEENS7_IdEENS7_IS3_EEb
	.p2align	8
	.type	_ZN9rocsparseL17csrilu0_binsearchILj256ELj64ELb1EfEEviPKiS2_PT2_S2_PiS2_S5_S5_d21rocsparse_index_base_imNS_24const_host_device_scalarIfEENS7_IdEENS7_IS3_EEb,@function
_ZN9rocsparseL17csrilu0_binsearchILj256ELj64ELb1EfEEviPKiS2_PT2_S2_PiS2_S5_S5_d21rocsparse_index_base_imNS_24const_host_device_scalarIfEENS7_IdEENS7_IS3_EEb: ; @_ZN9rocsparseL17csrilu0_binsearchILj256ELj64ELb1EfEEviPKiS2_PT2_S2_PiS2_S5_S5_d21rocsparse_index_base_imNS_24const_host_device_scalarIfEENS7_IdEENS7_IS3_EEb
; %bb.0:
	s_clause 0x2
	s_load_dword s0, s[4:5], 0x78
	s_load_dwordx2 s[2:3], s[4:5], 0x50
	s_load_dwordx8 s[24:31], s[4:5], 0x58
	s_waitcnt lgkmcnt(0)
	s_bitcmp1_b32 s0, 0
	s_cselect_b32 s0, -1, 0
	s_cmp_eq_u32 s3, 0
	s_cselect_b32 s7, -1, 0
	s_cmp_lg_u32 s3, 0
	s_cselect_b32 s3, -1, 0
	s_or_b32 s9, s7, s0
	s_xor_b32 s8, s9, -1
	s_and_b32 s0, s7, exec_lo
	s_cselect_b32 s1, 0, s29
	s_cselect_b32 s0, 0, s28
	s_and_b32 vcc_lo, exec_lo, s9
	s_cbranch_vccnz .LBB0_2
; %bb.1:
	s_load_dword s0, s[26:27], 0x0
	s_waitcnt lgkmcnt(0)
	v_mov_b32_e32 v16, s0
	s_mov_b64 s[0:1], s[28:29]
	s_branch .LBB0_3
.LBB0_2:
	v_cndmask_b32_e64 v16, s26, 0, s7
.LBB0_3:
	v_mov_b32_e32 v4, s1
	v_cndmask_b32_e64 v1, 0, 1, s8
	v_mov_b32_e32 v3, s0
	s_andn2_b32 vcc_lo, exec_lo, s8
	s_cbranch_vccnz .LBB0_5
; %bb.4:
	v_mov_b32_e32 v2, s28
	v_mov_b32_e32 v3, s29
	flat_load_dwordx2 v[3:4], v[2:3]
.LBB0_5:
	v_cmp_ne_u32_e32 vcc_lo, 1, v1
	s_cbranch_vccnz .LBB0_7
; %bb.6:
	s_load_dword s0, s[30:31], 0x0
	s_waitcnt lgkmcnt(0)
	v_mov_b32_e32 v17, s0
	s_branch .LBB0_8
.LBB0_7:
	v_cndmask_b32_e64 v17, s30, 0, s7
.LBB0_8:
	s_load_dword s0, s[4:5], 0x0
	v_lshrrev_b32_e32 v1, 6, v0
	s_lshl_b32 s1, s6, 2
	v_and_or_b32 v1, 0x3fffffc, s1, v1
	s_waitcnt lgkmcnt(0)
	v_cmp_gt_i32_e32 vcc_lo, s0, v1
	s_and_saveexec_b32 s0, vcc_lo
	s_cbranch_execz .LBB0_46
; %bb.9:
	s_load_dwordx16 s[8:23], s[4:5], 0x8
	v_lshlrev_b32_e32 v1, 2, v1
	v_and_b32_e32 v0, 63, v0
	s_mov_b32 s0, exec_lo
	s_waitcnt lgkmcnt(0)
	global_load_dword v5, v1, s[18:19]
	s_waitcnt vmcnt(0)
	v_ashrrev_i32_e32 v6, 31, v5
	v_lshlrev_b64 v[1:2], 2, v[5:6]
	v_add_co_u32 v8, vcc_lo, s8, v1
	v_add_co_ci_u32_e64 v9, null, s9, v2, vcc_lo
	v_add_co_u32 v6, vcc_lo, s14, v1
	v_add_co_ci_u32_e64 v7, null, s15, v2, vcc_lo
	global_load_dword v10, v[8:9], off
	global_load_dword v6, v[6:7], off
	s_waitcnt vmcnt(1)
	v_subrev_nc_u32_e32 v7, s2, v10
	s_waitcnt vmcnt(0)
	v_cmpx_lt_i32_e64 v7, v6
	s_cbranch_execz .LBB0_28
; %bb.10:
	global_load_dword v8, v[8:9], off offset:4
	v_add_nc_u32_e32 v18, 1, v0
	s_mov_b32 s1, 0
	s_waitcnt vmcnt(0)
	v_xad_u32 v19, s2, -1, v8
	s_branch .LBB0_13
.LBB0_11:                               ;   in Loop: Header=BB0_13 Depth=1
	s_or_b32 exec_lo, exec_lo, s7
	v_cmp_ge_i32_e32 vcc_lo, v7, v6
	s_orn2_b32 s7, vcc_lo, exec_lo
.LBB0_12:                               ;   in Loop: Header=BB0_13 Depth=1
	s_or_b32 exec_lo, exec_lo, s6
	s_and_b32 s6, exec_lo, s7
	s_or_b32 s1, s6, s1
	s_andn2_b32 exec_lo, exec_lo, s1
	s_cbranch_execz .LBB0_28
.LBB0_13:                               ; =>This Loop Header: Depth=1
                                        ;     Child Loop BB0_16 Depth 2
                                        ;       Child Loop BB0_17 Depth 3
                                        ;     Child Loop BB0_22 Depth 2
                                        ;       Child Loop BB0_24 Depth 3
	v_ashrrev_i32_e32 v8, 31, v7
	s_mov_b32 s6, exec_lo
	v_lshlrev_b64 v[9:10], 2, v[7:8]
	v_add_co_u32 v11, vcc_lo, s10, v9
	v_add_co_ci_u32_e64 v12, null, s11, v10, vcc_lo
	v_add_co_u32 v9, vcc_lo, s12, v9
	v_add_co_ci_u32_e64 v10, null, s13, v10, vcc_lo
	global_load_dword v8, v[11:12], off
	s_waitcnt vmcnt(0)
	v_subrev_nc_u32_e32 v11, s2, v8
	v_ashrrev_i32_e32 v12, 31, v11
	v_lshlrev_b64 v[11:12], 2, v[11:12]
	v_add_co_u32 v14, vcc_lo, s8, v11
	v_add_co_ci_u32_e64 v15, null, s9, v12, vcc_lo
	v_add_co_u32 v20, vcc_lo, s14, v11
	v_add_co_ci_u32_e64 v21, null, s15, v12, vcc_lo
	;; [unrolled: 2-line block ×3, first 2 shown]
	global_load_dword v13, v[9:10], off
	global_load_dword v14, v[14:15], off offset:4
	global_load_dword v8, v[20:21], off
	global_load_dword v15, v[11:12], off glc dlc
	s_waitcnt vmcnt(0)
	v_cmpx_eq_u32_e32 0, v15
	s_cbranch_execz .LBB0_18
; %bb.14:                               ;   in Loop: Header=BB0_13 Depth=1
	s_mov_b32 s7, 0
	s_mov_b32 s18, 0
	s_branch .LBB0_16
	.p2align	6
.LBB0_15:                               ;   in Loop: Header=BB0_16 Depth=2
	global_load_dword v15, v[11:12], off glc dlc
	s_cmpk_lt_u32 s18, 0xf43
	s_cselect_b32 s19, -1, 0
	s_cmp_lg_u32 s19, 0
	s_addc_u32 s18, s18, 0
	s_waitcnt vmcnt(0)
	v_cmp_ne_u32_e32 vcc_lo, 0, v15
	s_or_b32 s7, vcc_lo, s7
	s_andn2_b32 exec_lo, exec_lo, s7
	s_cbranch_execz .LBB0_18
.LBB0_16:                               ;   Parent Loop BB0_13 Depth=1
                                        ; =>  This Loop Header: Depth=2
                                        ;       Child Loop BB0_17 Depth 3
	s_cmp_eq_u32 s18, 0
	s_mov_b32 s19, s18
	s_cbranch_scc1 .LBB0_15
.LBB0_17:                               ;   Parent Loop BB0_13 Depth=1
                                        ;     Parent Loop BB0_16 Depth=2
                                        ; =>    This Inner Loop Header: Depth=3
	s_add_i32 s19, s19, -1
	s_sleep 1
	s_cmp_eq_u32 s19, 0
	s_cbranch_scc0 .LBB0_17
	s_branch .LBB0_15
.LBB0_18:                               ;   in Loop: Header=BB0_13 Depth=1
	s_or_b32 exec_lo, exec_lo, s6
	v_subrev_nc_u32_e32 v20, s2, v14
	v_cmp_eq_u32_e32 vcc_lo, -1, v8
	buffer_gl1_inv
	buffer_gl0_inv
	s_mov_b32 s7, -1
	s_mov_b32 s6, exec_lo
	v_add_nc_u32_e32 v11, -1, v20
	v_cndmask_b32_e32 v11, v8, v11, vcc_lo
	v_ashrrev_i32_e32 v12, 31, v11
	v_lshlrev_b64 v[14:15], 2, v[11:12]
	v_add_co_u32 v14, vcc_lo, s12, v14
	v_add_co_ci_u32_e64 v15, null, s13, v15, vcc_lo
	global_load_dword v12, v[14:15], off
	s_waitcnt vmcnt(0)
	v_cmpx_neq_f32_e32 0, v12
	s_xor_b32 s6, exec_lo, s6
	s_cbranch_execz .LBB0_12
; %bb.19:                               ;   in Loop: Header=BB0_13 Depth=1
	v_div_scale_f32 v8, null, v12, v12, v13
	v_div_scale_f32 v21, vcc_lo, v13, v12, v13
	v_add_nc_u32_e32 v7, 1, v7
	v_rcp_f32_e32 v14, v8
	s_mov_b32 s7, exec_lo
	v_fma_f32 v15, -v8, v14, 1.0
	v_fmac_f32_e32 v14, v15, v14
	v_mul_f32_e32 v15, v21, v14
	v_fma_f32 v22, -v8, v15, v21
	v_fmac_f32_e32 v15, v22, v14
	v_fma_f32 v8, -v8, v15, v21
	v_div_fmas_f32 v14, v8, v14, v15
	v_add_nc_u32_e32 v8, v18, v11
	v_div_fixup_f32 v21, v14, v12, v13
	global_store_dword v[9:10], v21, off
	v_cmpx_lt_i32_e64 v8, v20
	s_cbranch_execz .LBB0_11
; %bb.20:                               ;   in Loop: Header=BB0_13 Depth=1
	v_mov_b32_e32 v10, v7
	s_mov_b32 s18, 0
	s_branch .LBB0_22
.LBB0_21:                               ;   in Loop: Header=BB0_22 Depth=2
	s_or_b32 exec_lo, exec_lo, s19
	v_add_nc_u32_e32 v8, 64, v8
	v_cmp_ge_i32_e32 vcc_lo, v8, v20
	s_or_b32 s18, vcc_lo, s18
	s_andn2_b32 exec_lo, exec_lo, s18
	s_cbranch_execz .LBB0_11
.LBB0_22:                               ;   Parent Loop BB0_13 Depth=1
                                        ; =>  This Loop Header: Depth=2
                                        ;       Child Loop BB0_24 Depth 3
	v_add_nc_u32_e32 v9, v10, v19
	s_mov_b32 s19, exec_lo
	v_ashrrev_i32_e32 v14, 1, v9
	v_ashrrev_i32_e32 v9, 31, v8
	;; [unrolled: 1-line block ×3, first 2 shown]
	v_lshlrev_b64 v[12:13], 2, v[8:9]
	v_lshlrev_b64 v[22:23], 2, v[14:15]
	v_add_co_u32 v24, vcc_lo, s10, v12
	v_add_co_ci_u32_e64 v25, null, s11, v13, vcc_lo
	v_add_co_u32 v22, vcc_lo, s10, v22
	v_add_co_ci_u32_e64 v23, null, s11, v23, vcc_lo
	s_clause 0x1
	global_load_dword v9, v[24:25], off
	global_load_dword v11, v[22:23], off
	v_cmpx_lt_i32_e64 v10, v19
	s_cbranch_execz .LBB0_26
; %bb.23:                               ;   in Loop: Header=BB0_22 Depth=2
	v_mov_b32_e32 v22, v19
	s_mov_b32 s26, 0
	.p2align	6
.LBB0_24:                               ;   Parent Loop BB0_13 Depth=1
                                        ;     Parent Loop BB0_22 Depth=2
                                        ; =>    This Inner Loop Header: Depth=3
	v_add_nc_u32_e32 v15, 1, v14
	s_waitcnt vmcnt(0)
	v_cmp_lt_i32_e32 vcc_lo, v11, v9
	v_cndmask_b32_e32 v22, v14, v22, vcc_lo
	v_cndmask_b32_e32 v10, v10, v15, vcc_lo
	v_add_nc_u32_e32 v11, v22, v10
	v_ashrrev_i32_e32 v14, 1, v11
	v_ashrrev_i32_e32 v15, 31, v14
	v_lshlrev_b64 v[23:24], 2, v[14:15]
	v_add_co_u32 v23, vcc_lo, s10, v23
	v_add_co_ci_u32_e64 v24, null, s11, v24, vcc_lo
	v_cmp_ge_i32_e32 vcc_lo, v10, v22
	global_load_dword v11, v[23:24], off
	s_or_b32 s26, vcc_lo, s26
	s_andn2_b32 exec_lo, exec_lo, s26
	s_cbranch_execnz .LBB0_24
; %bb.25:                               ;   in Loop: Header=BB0_22 Depth=2
	s_or_b32 exec_lo, exec_lo, s26
.LBB0_26:                               ;   in Loop: Header=BB0_22 Depth=2
	s_or_b32 exec_lo, exec_lo, s19
	s_mov_b32 s19, exec_lo
	s_waitcnt vmcnt(0)
	v_cmpx_eq_u32_e64 v11, v9
	s_cbranch_execz .LBB0_21
; %bb.27:                               ;   in Loop: Header=BB0_22 Depth=2
	v_ashrrev_i32_e32 v11, 31, v10
	v_lshlrev_b64 v[14:15], 2, v[10:11]
	v_add_co_u32 v11, vcc_lo, s12, v12
	v_add_co_ci_u32_e64 v12, null, s13, v13, vcc_lo
	v_add_co_u32 v13, vcc_lo, s12, v14
	v_add_co_ci_u32_e64 v14, null, s13, v15, vcc_lo
	s_clause 0x1
	global_load_dword v9, v[11:12], off
	global_load_dword v11, v[13:14], off
	s_waitcnt vmcnt(0)
	v_fma_f32 v9, -v21, v9, v11
	global_store_dword v[13:14], v9, off
	s_branch .LBB0_21
.LBB0_28:
	s_or_b32 exec_lo, exec_lo, s0
	s_mov_b32 s6, -1
	s_mov_b32 s1, exec_lo
	s_waitcnt_vscnt null, 0x0
	buffer_gl0_inv
	v_cmpx_lt_i32_e32 -1, v6
	s_cbranch_execz .LBB0_44
; %bb.29:
	v_mov_b32_e32 v7, 0
	v_cmp_eq_u32_e64 s0, 0, v0
	v_lshlrev_b64 v[6:7], 2, v[6:7]
	v_add_co_u32 v8, vcc_lo, s12, v6
	v_add_co_ci_u32_e64 v9, null, s13, v7, vcc_lo
	global_load_dword v10, v[8:9], off
	s_waitcnt vmcnt(0)
	v_cmp_gt_f32_e32 vcc_lo, 0, v10
	v_cndmask_b32_e64 v6, v10, -v10, vcc_lo
	s_andn2_b32 vcc_lo, exec_lo, s3
	v_cvt_f64_f32_e32 v[6:7], v6
	s_cbranch_vccnz .LBB0_33
; %bb.30:
	v_cvt_f64_f32_e32 v[11:12], v16
	s_cmp_eq_u64 s[24:25], 8
	s_cselect_b32 vcc_lo, -1, 0
	v_cndmask_b32_e32 v4, v12, v4, vcc_lo
	v_cndmask_b32_e32 v3, v11, v3, vcc_lo
	v_cmp_ge_f64_e32 vcc_lo, v[3:4], v[6:7]
	s_and_b32 s6, s0, vcc_lo
	s_and_saveexec_b32 s3, s6
	s_cbranch_execz .LBB0_32
; %bb.31:
	global_store_dword v[8:9], v17, off
.LBB0_32:
	s_or_b32 exec_lo, exec_lo, s3
	s_mov_b32 s6, 0
.LBB0_33:
	s_andn2_b32 vcc_lo, exec_lo, s6
	s_cbranch_vccnz .LBB0_44
; %bb.34:
	s_load_dwordx2 s[4:5], s[4:5], 0x48
	v_add_nc_u32_e32 v3, s2, v5
	s_waitcnt lgkmcnt(0)
	v_cmp_ge_f64_e32 vcc_lo, s[4:5], v[6:7]
	s_and_b32 s3, s0, vcc_lo
	s_and_saveexec_b32 s2, s3
	s_cbranch_execz .LBB0_39
; %bb.35:
	s_mov_b32 s4, exec_lo
	s_brev_b32 s3, -2
.LBB0_36:                               ; =>This Inner Loop Header: Depth=1
	s_ff1_i32_b32 s5, s4
	v_readlane_b32 s6, v3, s5
	s_lshl_b32 s5, 1, s5
	s_andn2_b32 s4, s4, s5
	s_min_i32 s3, s3, s6
	s_cmp_lg_u32 s4, 0
	s_cbranch_scc1 .LBB0_36
; %bb.37:
	v_mbcnt_lo_u32_b32 v4, exec_lo, 0
	s_mov_b32 s4, exec_lo
	v_cmpx_eq_u32_e32 0, v4
	s_xor_b32 s4, exec_lo, s4
	s_cbranch_execz .LBB0_39
; %bb.38:
	v_mov_b32_e32 v4, 0
	v_mov_b32_e32 v5, s3
	global_atomic_smin v4, v5, s[22:23]
.LBB0_39:
	s_or_b32 exec_lo, exec_lo, s2
	v_cmp_eq_f32_e32 vcc_lo, 0, v10
	s_and_b32 s0, s0, vcc_lo
	s_and_b32 exec_lo, exec_lo, s0
	s_cbranch_execz .LBB0_44
; %bb.40:
	s_mov_b32 s2, exec_lo
	s_brev_b32 s0, -2
.LBB0_41:                               ; =>This Inner Loop Header: Depth=1
	s_ff1_i32_b32 s3, s2
	v_readlane_b32 s4, v3, s3
	s_lshl_b32 s3, 1, s3
	s_andn2_b32 s2, s2, s3
	s_min_i32 s0, s0, s4
	s_cmp_lg_u32 s2, 0
	s_cbranch_scc1 .LBB0_41
; %bb.42:
	v_mbcnt_lo_u32_b32 v3, exec_lo, 0
	s_mov_b32 s2, exec_lo
	v_cmpx_eq_u32_e32 0, v3
	s_xor_b32 s2, exec_lo, s2
	s_cbranch_execz .LBB0_44
; %bb.43:
	v_mov_b32_e32 v3, 0
	v_mov_b32_e32 v4, s0
	global_atomic_smin v3, v4, s[20:21]
.LBB0_44:
	s_or_b32 exec_lo, exec_lo, s1
	v_cmp_eq_u32_e32 vcc_lo, 0, v0
	s_waitcnt_vscnt null, 0x0
	buffer_gl1_inv
	buffer_gl0_inv
	s_and_b32 exec_lo, exec_lo, vcc_lo
	s_cbranch_execz .LBB0_46
; %bb.45:
	v_add_co_u32 v0, vcc_lo, s16, v1
	v_add_co_ci_u32_e64 v1, null, s17, v2, vcc_lo
	v_mov_b32_e32 v2, 1
	global_store_dword v[0:1], v2, off
.LBB0_46:
	s_endpgm
	.section	.rodata,"a",@progbits
	.p2align	6, 0x0
	.amdhsa_kernel _ZN9rocsparseL17csrilu0_binsearchILj256ELj64ELb1EfEEviPKiS2_PT2_S2_PiS2_S5_S5_d21rocsparse_index_base_imNS_24const_host_device_scalarIfEENS7_IdEENS7_IS3_EEb
		.amdhsa_group_segment_fixed_size 0
		.amdhsa_private_segment_fixed_size 0
		.amdhsa_kernarg_size 124
		.amdhsa_user_sgpr_count 6
		.amdhsa_user_sgpr_private_segment_buffer 1
		.amdhsa_user_sgpr_dispatch_ptr 0
		.amdhsa_user_sgpr_queue_ptr 0
		.amdhsa_user_sgpr_kernarg_segment_ptr 1
		.amdhsa_user_sgpr_dispatch_id 0
		.amdhsa_user_sgpr_flat_scratch_init 0
		.amdhsa_user_sgpr_private_segment_size 0
		.amdhsa_wavefront_size32 1
		.amdhsa_uses_dynamic_stack 0
		.amdhsa_system_sgpr_private_segment_wavefront_offset 0
		.amdhsa_system_sgpr_workgroup_id_x 1
		.amdhsa_system_sgpr_workgroup_id_y 0
		.amdhsa_system_sgpr_workgroup_id_z 0
		.amdhsa_system_sgpr_workgroup_info 0
		.amdhsa_system_vgpr_workitem_id 0
		.amdhsa_next_free_vgpr 26
		.amdhsa_next_free_sgpr 32
		.amdhsa_reserve_vcc 1
		.amdhsa_reserve_flat_scratch 0
		.amdhsa_float_round_mode_32 0
		.amdhsa_float_round_mode_16_64 0
		.amdhsa_float_denorm_mode_32 3
		.amdhsa_float_denorm_mode_16_64 3
		.amdhsa_dx10_clamp 1
		.amdhsa_ieee_mode 1
		.amdhsa_fp16_overflow 0
		.amdhsa_workgroup_processor_mode 1
		.amdhsa_memory_ordered 1
		.amdhsa_forward_progress 1
		.amdhsa_shared_vgpr_count 0
		.amdhsa_exception_fp_ieee_invalid_op 0
		.amdhsa_exception_fp_denorm_src 0
		.amdhsa_exception_fp_ieee_div_zero 0
		.amdhsa_exception_fp_ieee_overflow 0
		.amdhsa_exception_fp_ieee_underflow 0
		.amdhsa_exception_fp_ieee_inexact 0
		.amdhsa_exception_int_div_zero 0
	.end_amdhsa_kernel
	.section	.text._ZN9rocsparseL17csrilu0_binsearchILj256ELj64ELb1EfEEviPKiS2_PT2_S2_PiS2_S5_S5_d21rocsparse_index_base_imNS_24const_host_device_scalarIfEENS7_IdEENS7_IS3_EEb,"axG",@progbits,_ZN9rocsparseL17csrilu0_binsearchILj256ELj64ELb1EfEEviPKiS2_PT2_S2_PiS2_S5_S5_d21rocsparse_index_base_imNS_24const_host_device_scalarIfEENS7_IdEENS7_IS3_EEb,comdat
.Lfunc_end0:
	.size	_ZN9rocsparseL17csrilu0_binsearchILj256ELj64ELb1EfEEviPKiS2_PT2_S2_PiS2_S5_S5_d21rocsparse_index_base_imNS_24const_host_device_scalarIfEENS7_IdEENS7_IS3_EEb, .Lfunc_end0-_ZN9rocsparseL17csrilu0_binsearchILj256ELj64ELb1EfEEviPKiS2_PT2_S2_PiS2_S5_S5_d21rocsparse_index_base_imNS_24const_host_device_scalarIfEENS7_IdEENS7_IS3_EEb
                                        ; -- End function
	.set _ZN9rocsparseL17csrilu0_binsearchILj256ELj64ELb1EfEEviPKiS2_PT2_S2_PiS2_S5_S5_d21rocsparse_index_base_imNS_24const_host_device_scalarIfEENS7_IdEENS7_IS3_EEb.num_vgpr, 26
	.set _ZN9rocsparseL17csrilu0_binsearchILj256ELj64ELb1EfEEviPKiS2_PT2_S2_PiS2_S5_S5_d21rocsparse_index_base_imNS_24const_host_device_scalarIfEENS7_IdEENS7_IS3_EEb.num_agpr, 0
	.set _ZN9rocsparseL17csrilu0_binsearchILj256ELj64ELb1EfEEviPKiS2_PT2_S2_PiS2_S5_S5_d21rocsparse_index_base_imNS_24const_host_device_scalarIfEENS7_IdEENS7_IS3_EEb.numbered_sgpr, 32
	.set _ZN9rocsparseL17csrilu0_binsearchILj256ELj64ELb1EfEEviPKiS2_PT2_S2_PiS2_S5_S5_d21rocsparse_index_base_imNS_24const_host_device_scalarIfEENS7_IdEENS7_IS3_EEb.num_named_barrier, 0
	.set _ZN9rocsparseL17csrilu0_binsearchILj256ELj64ELb1EfEEviPKiS2_PT2_S2_PiS2_S5_S5_d21rocsparse_index_base_imNS_24const_host_device_scalarIfEENS7_IdEENS7_IS3_EEb.private_seg_size, 0
	.set _ZN9rocsparseL17csrilu0_binsearchILj256ELj64ELb1EfEEviPKiS2_PT2_S2_PiS2_S5_S5_d21rocsparse_index_base_imNS_24const_host_device_scalarIfEENS7_IdEENS7_IS3_EEb.uses_vcc, 1
	.set _ZN9rocsparseL17csrilu0_binsearchILj256ELj64ELb1EfEEviPKiS2_PT2_S2_PiS2_S5_S5_d21rocsparse_index_base_imNS_24const_host_device_scalarIfEENS7_IdEENS7_IS3_EEb.uses_flat_scratch, 0
	.set _ZN9rocsparseL17csrilu0_binsearchILj256ELj64ELb1EfEEviPKiS2_PT2_S2_PiS2_S5_S5_d21rocsparse_index_base_imNS_24const_host_device_scalarIfEENS7_IdEENS7_IS3_EEb.has_dyn_sized_stack, 0
	.set _ZN9rocsparseL17csrilu0_binsearchILj256ELj64ELb1EfEEviPKiS2_PT2_S2_PiS2_S5_S5_d21rocsparse_index_base_imNS_24const_host_device_scalarIfEENS7_IdEENS7_IS3_EEb.has_recursion, 0
	.set _ZN9rocsparseL17csrilu0_binsearchILj256ELj64ELb1EfEEviPKiS2_PT2_S2_PiS2_S5_S5_d21rocsparse_index_base_imNS_24const_host_device_scalarIfEENS7_IdEENS7_IS3_EEb.has_indirect_call, 0
	.section	.AMDGPU.csdata,"",@progbits
; Kernel info:
; codeLenInByte = 1728
; TotalNumSgprs: 34
; NumVgprs: 26
; ScratchSize: 0
; MemoryBound: 0
; FloatMode: 240
; IeeeMode: 1
; LDSByteSize: 0 bytes/workgroup (compile time only)
; SGPRBlocks: 0
; VGPRBlocks: 3
; NumSGPRsForWavesPerEU: 34
; NumVGPRsForWavesPerEU: 26
; Occupancy: 16
; WaveLimiterHint : 1
; COMPUTE_PGM_RSRC2:SCRATCH_EN: 0
; COMPUTE_PGM_RSRC2:USER_SGPR: 6
; COMPUTE_PGM_RSRC2:TRAP_HANDLER: 0
; COMPUTE_PGM_RSRC2:TGID_X_EN: 1
; COMPUTE_PGM_RSRC2:TGID_Y_EN: 0
; COMPUTE_PGM_RSRC2:TGID_Z_EN: 0
; COMPUTE_PGM_RSRC2:TIDIG_COMP_CNT: 0
	.section	.text._ZN9rocsparseL12csrilu0_hashILj256ELj32ELj1EfEEviPKiS2_PT2_S2_PiS2_S5_S5_d21rocsparse_index_base_imNS_24const_host_device_scalarIfEENS7_IdEENS7_IS3_EEb,"axG",@progbits,_ZN9rocsparseL12csrilu0_hashILj256ELj32ELj1EfEEviPKiS2_PT2_S2_PiS2_S5_S5_d21rocsparse_index_base_imNS_24const_host_device_scalarIfEENS7_IdEENS7_IS3_EEb,comdat
	.globl	_ZN9rocsparseL12csrilu0_hashILj256ELj32ELj1EfEEviPKiS2_PT2_S2_PiS2_S5_S5_d21rocsparse_index_base_imNS_24const_host_device_scalarIfEENS7_IdEENS7_IS3_EEb ; -- Begin function _ZN9rocsparseL12csrilu0_hashILj256ELj32ELj1EfEEviPKiS2_PT2_S2_PiS2_S5_S5_d21rocsparse_index_base_imNS_24const_host_device_scalarIfEENS7_IdEENS7_IS3_EEb
	.p2align	8
	.type	_ZN9rocsparseL12csrilu0_hashILj256ELj32ELj1EfEEviPKiS2_PT2_S2_PiS2_S5_S5_d21rocsparse_index_base_imNS_24const_host_device_scalarIfEENS7_IdEENS7_IS3_EEb,@function
_ZN9rocsparseL12csrilu0_hashILj256ELj32ELj1EfEEviPKiS2_PT2_S2_PiS2_S5_S5_d21rocsparse_index_base_imNS_24const_host_device_scalarIfEENS7_IdEENS7_IS3_EEb: ; @_ZN9rocsparseL12csrilu0_hashILj256ELj32ELj1EfEEviPKiS2_PT2_S2_PiS2_S5_S5_d21rocsparse_index_base_imNS_24const_host_device_scalarIfEENS7_IdEENS7_IS3_EEb
; %bb.0:
	s_clause 0x2
	s_load_dword s0, s[4:5], 0x78
	s_load_dwordx2 s[2:3], s[4:5], 0x50
	s_load_dwordx8 s[24:31], s[4:5], 0x58
	s_waitcnt lgkmcnt(0)
	s_bitcmp1_b32 s0, 0
	s_cselect_b32 s0, -1, 0
	s_cmp_eq_u32 s3, 0
	s_cselect_b32 s7, -1, 0
	s_cmp_lg_u32 s3, 0
	s_cselect_b32 s3, -1, 0
	s_or_b32 s9, s7, s0
	s_xor_b32 s8, s9, -1
	s_and_b32 s0, s7, exec_lo
	s_cselect_b32 s1, 0, s29
	s_cselect_b32 s0, 0, s28
	s_and_b32 vcc_lo, exec_lo, s9
	s_cbranch_vccnz .LBB1_2
; %bb.1:
	s_load_dword s0, s[26:27], 0x0
	s_waitcnt lgkmcnt(0)
	v_mov_b32_e32 v13, s0
	s_mov_b64 s[0:1], s[28:29]
	s_branch .LBB1_3
.LBB1_2:
	v_cndmask_b32_e64 v13, s26, 0, s7
.LBB1_3:
	v_mov_b32_e32 v3, s1
	v_cndmask_b32_e64 v1, 0, 1, s8
	v_mov_b32_e32 v2, s0
	s_andn2_b32 vcc_lo, exec_lo, s8
	s_cbranch_vccnz .LBB1_5
; %bb.4:
	v_mov_b32_e32 v2, s28
	v_mov_b32_e32 v3, s29
	flat_load_dwordx2 v[2:3], v[2:3]
.LBB1_5:
	v_cmp_ne_u32_e32 vcc_lo, 1, v1
	s_cbranch_vccnz .LBB1_7
; %bb.6:
	s_load_dword s0, s[30:31], 0x0
	s_waitcnt lgkmcnt(0)
	v_mov_b32_e32 v14, s0
	s_branch .LBB1_8
.LBB1_7:
	v_cndmask_b32_e64 v14, s30, 0, s7
.LBB1_8:
	s_load_dword s0, s[4:5], 0x0
	v_and_b32_e32 v8, 0xe0, v0
	v_lshrrev_b32_e32 v1, 5, v0
	s_lshl_b32 s1, s6, 3
	v_and_b32_e32 v12, 31, v0
	v_mov_b32_e32 v4, -1
	v_lshl_or_b32 v15, v8, 2, 0x400
	v_and_or_b32 v0, 0x7fffff8, s1, v1
	v_lshl_or_b32 v1, v12, 2, v15
	ds_write_b32 v1, v4
	s_waitcnt vmcnt(0) lgkmcnt(0)
	buffer_gl0_inv
	v_cmp_gt_i32_e32 vcc_lo, s0, v0
	s_and_saveexec_b32 s0, vcc_lo
	s_cbranch_execz .LBB1_80
; %bb.9:
	s_load_dwordx16 s[8:23], s[4:5], 0x8
	v_lshlrev_b32_e32 v0, 2, v0
	v_lshlrev_b32_e32 v16, 2, v8
	s_mov_b32 s0, exec_lo
	s_waitcnt lgkmcnt(0)
	global_load_dword v4, v0, s[18:19]
	s_waitcnt vmcnt(0)
	v_ashrrev_i32_e32 v5, 31, v4
	v_lshlrev_b64 v[0:1], 2, v[4:5]
	v_add_co_u32 v5, vcc_lo, s8, v0
	v_add_co_ci_u32_e64 v6, null, s9, v1, vcc_lo
	v_add_co_u32 v9, vcc_lo, s14, v0
	v_add_co_ci_u32_e64 v10, null, s15, v1, vcc_lo
	global_load_dwordx2 v[6:7], v[5:6], off
	global_load_dword v5, v[9:10], off
	s_waitcnt vmcnt(1)
	v_subrev_nc_u32_e32 v6, s2, v6
	v_subrev_nc_u32_e32 v9, s2, v7
	v_add_nc_u32_e32 v7, v6, v12
	v_cmpx_lt_i32_e64 v7, v9
	s_cbranch_execz .LBB1_32
; %bb.10:
	v_mov_b32_e32 v10, -1
	s_mov_b32 s1, 0
	s_branch .LBB1_12
.LBB1_11:                               ;   in Loop: Header=BB1_12 Depth=1
	s_or_b32 exec_lo, exec_lo, s6
	v_add_nc_u32_e32 v7, 32, v7
	v_cmp_ge_i32_e32 vcc_lo, v7, v9
	s_or_b32 s1, vcc_lo, s1
	s_andn2_b32 exec_lo, exec_lo, s1
	s_cbranch_execz .LBB1_32
.LBB1_12:                               ; =>This Loop Header: Depth=1
                                        ;     Child Loop BB1_21 Depth 2
	v_ashrrev_i32_e32 v8, 31, v7
	v_mov_b32_e32 v11, 32
	s_mov_b32 s6, 0
                                        ; implicit-def: $sgpr7
                                        ; implicit-def: $sgpr18
                                        ; implicit-def: $sgpr19
	v_lshlrev_b64 v[17:18], 2, v[7:8]
	v_add_co_u32 v17, vcc_lo, s10, v17
	v_add_co_ci_u32_e64 v18, null, s11, v18, vcc_lo
	global_load_dword v8, v[17:18], off
	s_waitcnt vmcnt(0)
	v_mul_lo_u32 v18, v8, 7
	s_branch .LBB1_21
.LBB1_13:                               ;   in Loop: Header=BB1_21 Depth=2
	s_or_b32 exec_lo, exec_lo, s36
	s_orn2_b32 s34, s34, exec_lo
	s_orn2_b32 s35, s35, exec_lo
.LBB1_14:                               ;   in Loop: Header=BB1_21 Depth=2
	s_or_b32 exec_lo, exec_lo, s33
	s_and_b32 s34, s34, exec_lo
	s_orn2_b32 s33, s35, exec_lo
.LBB1_15:                               ;   in Loop: Header=BB1_21 Depth=2
	s_or_b32 exec_lo, exec_lo, s31
	s_orn2_b32 s31, s34, exec_lo
	s_orn2_b32 s33, s33, exec_lo
.LBB1_16:                               ;   in Loop: Header=BB1_21 Depth=2
	s_or_b32 exec_lo, exec_lo, s30
	s_and_b32 s31, s31, exec_lo
	s_orn2_b32 s30, s33, exec_lo
.LBB1_17:                               ;   in Loop: Header=BB1_21 Depth=2
	s_or_b32 exec_lo, exec_lo, s29
	s_orn2_b32 s29, s31, exec_lo
	s_orn2_b32 s30, s30, exec_lo
.LBB1_18:                               ;   in Loop: Header=BB1_21 Depth=2
	s_or_b32 exec_lo, exec_lo, s28
	s_and_b32 s29, s29, exec_lo
	s_orn2_b32 s28, s30, exec_lo
.LBB1_19:                               ;   in Loop: Header=BB1_21 Depth=2
	s_or_b32 exec_lo, exec_lo, s27
	s_andn2_b32 s19, s19, exec_lo
	s_and_b32 s27, s29, exec_lo
	s_andn2_b32 s18, s18, exec_lo
	s_and_b32 s28, s28, exec_lo
	s_or_b32 s19, s19, s27
	s_or_b32 s18, s18, s28
.LBB1_20:                               ;   in Loop: Header=BB1_21 Depth=2
	s_or_b32 exec_lo, exec_lo, s26
	s_and_b32 s26, exec_lo, s18
	s_or_b32 s6, s26, s6
	s_andn2_b32 s7, s7, exec_lo
	s_and_b32 s26, s19, exec_lo
	s_or_b32 s7, s7, s26
	s_andn2_b32 exec_lo, exec_lo, s6
	s_cbranch_execz .LBB1_30
.LBB1_21:                               ;   Parent Loop BB1_12 Depth=1
                                        ; =>  This Inner Loop Header: Depth=2
	v_and_b32_e32 v17, 31, v18
	s_or_b32 s19, s19, exec_lo
	s_or_b32 s18, s18, exec_lo
	s_mov_b32 s26, exec_lo
	v_lshl_add_u32 v19, v17, 2, v15
	ds_read_b32 v20, v19
	s_waitcnt lgkmcnt(0)
	v_cmpx_ne_u32_e64 v20, v8
	s_cbranch_execz .LBB1_20
; %bb.22:                               ;   in Loop: Header=BB1_21 Depth=2
	ds_cmpst_rtn_b32 v19, v19, v10, v8
	s_mov_b32 s28, -1
	s_mov_b32 s29, 0
	s_mov_b32 s27, exec_lo
	s_waitcnt lgkmcnt(0)
	v_cmpx_ne_u32_e32 -1, v19
	s_cbranch_execz .LBB1_19
; %bb.23:                               ;   in Loop: Header=BB1_21 Depth=2
	v_add_nc_u32_e32 v17, 1, v18
	s_mov_b32 s30, -1
	s_mov_b32 s29, -1
	s_mov_b32 s28, exec_lo
	v_and_b32_e32 v17, 31, v17
	v_lshl_add_u32 v19, v17, 2, v15
	ds_read_b32 v20, v19
	s_waitcnt lgkmcnt(0)
	v_cmpx_ne_u32_e64 v20, v8
	s_cbranch_execz .LBB1_18
; %bb.24:                               ;   in Loop: Header=BB1_21 Depth=2
	ds_cmpst_rtn_b32 v19, v19, v10, v8
	s_mov_b32 s31, 0
	s_mov_b32 s29, exec_lo
	s_waitcnt lgkmcnt(0)
	v_cmpx_ne_u32_e32 -1, v19
	s_cbranch_execz .LBB1_17
; %bb.25:                               ;   in Loop: Header=BB1_21 Depth=2
	v_add_nc_u32_e32 v17, 2, v18
	s_mov_b32 s33, -1
	s_mov_b32 s31, -1
	s_mov_b32 s30, exec_lo
	v_and_b32_e32 v17, 31, v17
	v_lshl_add_u32 v19, v17, 2, v15
	ds_read_b32 v20, v19
	s_waitcnt lgkmcnt(0)
	v_cmpx_ne_u32_e64 v20, v8
	s_cbranch_execz .LBB1_16
; %bb.26:                               ;   in Loop: Header=BB1_21 Depth=2
	ds_cmpst_rtn_b32 v19, v19, v10, v8
	s_mov_b32 s34, 0
	s_mov_b32 s31, exec_lo
	s_waitcnt lgkmcnt(0)
	v_cmpx_ne_u32_e32 -1, v19
	s_cbranch_execz .LBB1_15
; %bb.27:                               ;   in Loop: Header=BB1_21 Depth=2
	v_add_nc_u32_e32 v17, 3, v18
	s_mov_b32 s35, -1
	s_mov_b32 s34, -1
	v_and_b32_e32 v17, 31, v17
	v_lshl_add_u32 v19, v17, 2, v15
	ds_read_b32 v18, v19
	s_waitcnt lgkmcnt(0)
	v_cmp_ne_u32_e32 vcc_lo, v18, v8
                                        ; implicit-def: $vgpr18
	s_and_saveexec_b32 s33, vcc_lo
	s_cbranch_execz .LBB1_14
; %bb.28:                               ;   in Loop: Header=BB1_21 Depth=2
	ds_cmpst_rtn_b32 v18, v19, v10, v8
	s_mov_b32 s34, 0
	s_waitcnt lgkmcnt(0)
	v_cmp_ne_u32_e32 vcc_lo, -1, v18
                                        ; implicit-def: $vgpr18
	s_and_saveexec_b32 s36, vcc_lo
	s_cbranch_execz .LBB1_13
; %bb.29:                               ;   in Loop: Header=BB1_21 Depth=2
	v_add_nc_u32_e32 v11, -4, v11
	v_add_nc_u32_e32 v18, 1, v17
	s_mov_b32 s34, exec_lo
	v_cmp_eq_u32_e32 vcc_lo, 0, v11
	s_orn2_b32 s35, vcc_lo, exec_lo
	s_branch .LBB1_13
.LBB1_30:                               ;   in Loop: Header=BB1_12 Depth=1
	s_or_b32 exec_lo, exec_lo, s6
	s_xor_b32 s6, s7, -1
	s_and_saveexec_b32 s7, s6
	s_xor_b32 s6, exec_lo, s7
	s_cbranch_execz .LBB1_11
; %bb.31:                               ;   in Loop: Header=BB1_12 Depth=1
	v_lshl_add_u32 v8, v17, 2, v16
	ds_write_b32 v8, v7
	s_branch .LBB1_11
.LBB1_32:
	s_or_b32 exec_lo, exec_lo, s0
	s_mov_b32 s0, exec_lo
	s_waitcnt vmcnt(0) lgkmcnt(0)
	buffer_gl0_inv
	v_cmpx_lt_i32_e64 v6, v5
	s_cbranch_execz .LBB1_62
; %bb.33:
	v_add_nc_u32_e32 v17, 1, v12
	s_mov_b32 s1, 0
	s_branch .LBB1_36
.LBB1_34:                               ;   in Loop: Header=BB1_36 Depth=1
	s_or_b32 exec_lo, exec_lo, s7
	v_add_nc_u32_e32 v6, 1, v6
	v_cmp_ge_i32_e32 vcc_lo, v6, v5
	s_orn2_b32 s7, vcc_lo, exec_lo
.LBB1_35:                               ;   in Loop: Header=BB1_36 Depth=1
	s_or_b32 exec_lo, exec_lo, s6
	s_and_b32 s6, exec_lo, s7
	s_or_b32 s1, s6, s1
	s_andn2_b32 exec_lo, exec_lo, s1
	s_cbranch_execz .LBB1_62
.LBB1_36:                               ; =>This Loop Header: Depth=1
                                        ;     Child Loop BB1_37 Depth 2
                                        ;     Child Loop BB1_42 Depth 2
                                        ;       Child Loop BB1_51 Depth 3
	v_ashrrev_i32_e32 v7, 31, v6
	s_mov_b32 s6, 0
	v_lshlrev_b64 v[8:9], 2, v[6:7]
	v_add_co_u32 v10, vcc_lo, s10, v8
	v_add_co_ci_u32_e64 v11, null, s11, v9, vcc_lo
	v_add_co_u32 v8, vcc_lo, s12, v8
	v_add_co_ci_u32_e64 v9, null, s13, v9, vcc_lo
	global_load_dword v7, v[10:11], off
	s_waitcnt vmcnt(0)
	v_subrev_nc_u32_e32 v10, s2, v7
	v_ashrrev_i32_e32 v11, 31, v10
	v_lshlrev_b64 v[10:11], 2, v[10:11]
	v_add_co_u32 v20, vcc_lo, s8, v10
	v_add_co_ci_u32_e64 v21, null, s9, v11, vcc_lo
	v_add_co_u32 v22, vcc_lo, s14, v10
	v_add_co_ci_u32_e64 v23, null, s15, v11, vcc_lo
	global_load_dword v19, v[8:9], off
	global_load_dword v7, v[20:21], off offset:4
	global_load_dword v20, v[22:23], off
	v_add_co_u32 v10, vcc_lo, s16, v10
	v_add_co_ci_u32_e64 v11, null, s17, v11, vcc_lo
.LBB1_37:                               ;   Parent Loop BB1_36 Depth=1
                                        ; =>  This Inner Loop Header: Depth=2
	global_load_dword v18, v[10:11], off glc dlc
	s_waitcnt vmcnt(0)
	v_cmp_ne_u32_e32 vcc_lo, 0, v18
	s_or_b32 s6, vcc_lo, s6
	s_andn2_b32 exec_lo, exec_lo, s6
	s_cbranch_execnz .LBB1_37
; %bb.38:                               ;   in Loop: Header=BB1_36 Depth=1
	s_or_b32 exec_lo, exec_lo, s6
	v_subrev_nc_u32_e32 v18, s2, v7
	v_cmp_eq_u32_e32 vcc_lo, -1, v20
	buffer_gl1_inv
	buffer_gl0_inv
	s_mov_b32 s7, -1
	s_mov_b32 s6, exec_lo
	v_add_nc_u32_e32 v7, -1, v18
	v_cndmask_b32_e32 v10, v20, v7, vcc_lo
	v_ashrrev_i32_e32 v11, 31, v10
	v_lshlrev_b64 v[20:21], 2, v[10:11]
	v_add_co_u32 v20, vcc_lo, s12, v20
	v_add_co_ci_u32_e64 v21, null, s13, v21, vcc_lo
	global_load_dword v11, v[20:21], off
	s_waitcnt vmcnt(0)
	v_cmpx_neq_f32_e32 0, v11
	s_cbranch_execz .LBB1_35
; %bb.39:                               ;   in Loop: Header=BB1_36 Depth=1
	v_div_scale_f32 v7, null, v11, v11, v19
	s_mov_b32 s7, exec_lo
	v_rcp_f32_e32 v20, v7
	v_fma_f32 v21, -v7, v20, 1.0
	v_fmac_f32_e32 v20, v21, v20
	v_div_scale_f32 v21, vcc_lo, v19, v11, v19
	v_mul_f32_e32 v22, v21, v20
	v_fma_f32 v23, -v7, v22, v21
	v_fmac_f32_e32 v22, v23, v20
	v_fma_f32 v7, -v7, v22, v21
	v_div_fmas_f32 v20, v7, v20, v22
	v_add_nc_u32_e32 v7, v17, v10
	v_div_fixup_f32 v10, v20, v11, v19
	global_store_dword v[8:9], v10, off
	v_cmpx_lt_i32_e64 v7, v18
	s_cbranch_execz .LBB1_34
; %bb.40:                               ;   in Loop: Header=BB1_36 Depth=1
	s_mov_b32 s18, 0
	s_branch .LBB1_42
.LBB1_41:                               ;   in Loop: Header=BB1_42 Depth=2
	s_or_b32 exec_lo, exec_lo, s19
	v_add_nc_u32_e32 v7, 32, v7
	v_cmp_ge_i32_e32 vcc_lo, v7, v18
	s_or_b32 s18, vcc_lo, s18
	s_andn2_b32 exec_lo, exec_lo, s18
	s_cbranch_execz .LBB1_34
.LBB1_42:                               ;   Parent Loop BB1_36 Depth=1
                                        ; =>  This Loop Header: Depth=2
                                        ;       Child Loop BB1_51 Depth 3
	v_ashrrev_i32_e32 v8, 31, v7
	s_mov_b32 s19, 0
                                        ; implicit-def: $sgpr26
                                        ; implicit-def: $sgpr27
                                        ; implicit-def: $sgpr28
	v_lshlrev_b64 v[8:9], 2, v[7:8]
	v_add_co_u32 v19, vcc_lo, s10, v8
	v_add_co_ci_u32_e64 v20, null, s11, v9, vcc_lo
	global_load_dword v11, v[19:20], off
	v_mov_b32_e32 v19, 32
	s_waitcnt vmcnt(0)
	v_mul_lo_u32 v21, v11, 7
	s_branch .LBB1_51
.LBB1_43:                               ;   in Loop: Header=BB1_51 Depth=3
	s_or_b32 exec_lo, exec_lo, s39
	s_orn2_b32 s37, s37, exec_lo
	s_orn2_b32 s38, s38, exec_lo
.LBB1_44:                               ;   in Loop: Header=BB1_51 Depth=3
	s_or_b32 exec_lo, exec_lo, s36
	s_and_b32 s37, s37, exec_lo
	s_orn2_b32 s36, s38, exec_lo
.LBB1_45:                               ;   in Loop: Header=BB1_51 Depth=3
	s_or_b32 exec_lo, exec_lo, s35
	s_orn2_b32 s35, s37, exec_lo
	s_orn2_b32 s36, s36, exec_lo
.LBB1_46:                               ;   in Loop: Header=BB1_51 Depth=3
	s_or_b32 exec_lo, exec_lo, s34
	s_and_b32 s35, s35, exec_lo
	s_orn2_b32 s34, s36, exec_lo
.LBB1_47:                               ;   in Loop: Header=BB1_51 Depth=3
	s_or_b32 exec_lo, exec_lo, s33
	s_orn2_b32 s33, s35, exec_lo
	s_orn2_b32 s34, s34, exec_lo
.LBB1_48:                               ;   in Loop: Header=BB1_51 Depth=3
	s_or_b32 exec_lo, exec_lo, s31
	s_and_b32 s33, s33, exec_lo
	s_orn2_b32 s31, s34, exec_lo
.LBB1_49:                               ;   in Loop: Header=BB1_51 Depth=3
	s_or_b32 exec_lo, exec_lo, s30
	s_andn2_b32 s28, s28, exec_lo
	s_and_b32 s30, s33, exec_lo
	s_andn2_b32 s27, s27, exec_lo
	s_and_b32 s31, s31, exec_lo
	s_or_b32 s28, s28, s30
	s_or_b32 s27, s27, s31
.LBB1_50:                               ;   in Loop: Header=BB1_51 Depth=3
	s_or_b32 exec_lo, exec_lo, s29
	s_and_b32 s29, exec_lo, s27
	s_or_b32 s19, s29, s19
	s_andn2_b32 s26, s26, exec_lo
	s_and_b32 s29, s28, exec_lo
	s_or_b32 s26, s26, s29
	s_andn2_b32 exec_lo, exec_lo, s19
	s_cbranch_execz .LBB1_60
.LBB1_51:                               ;   Parent Loop BB1_36 Depth=1
                                        ;     Parent Loop BB1_42 Depth=2
                                        ; =>    This Inner Loop Header: Depth=3
	v_and_b32_e32 v20, 31, v21
	s_or_b32 s28, s28, exec_lo
	s_or_b32 s27, s27, exec_lo
	s_mov_b32 s29, exec_lo
	v_lshl_add_u32 v22, v20, 2, v15
	ds_read_b32 v22, v22
	s_waitcnt lgkmcnt(0)
	v_cmpx_ne_u32_e32 -1, v22
	s_cbranch_execz .LBB1_50
; %bb.52:                               ;   in Loop: Header=BB1_51 Depth=3
	s_mov_b32 s31, -1
	s_mov_b32 s33, 0
	s_mov_b32 s30, exec_lo
	v_cmpx_ne_u32_e64 v22, v11
	s_cbranch_execz .LBB1_49
; %bb.53:                               ;   in Loop: Header=BB1_51 Depth=3
	v_add_nc_u32_e32 v20, 1, v21
	s_mov_b32 s34, -1
	s_mov_b32 s33, -1
	s_mov_b32 s31, exec_lo
	v_and_b32_e32 v20, 31, v20
	v_lshl_add_u32 v22, v20, 2, v15
	ds_read_b32 v22, v22
	s_waitcnt lgkmcnt(0)
	v_cmpx_ne_u32_e32 -1, v22
	s_cbranch_execz .LBB1_48
; %bb.54:                               ;   in Loop: Header=BB1_51 Depth=3
	s_mov_b32 s35, 0
	s_mov_b32 s33, exec_lo
	v_cmpx_ne_u32_e64 v22, v11
	s_cbranch_execz .LBB1_47
; %bb.55:                               ;   in Loop: Header=BB1_51 Depth=3
	v_add_nc_u32_e32 v20, 2, v21
	s_mov_b32 s36, -1
	s_mov_b32 s35, -1
	s_mov_b32 s34, exec_lo
	v_and_b32_e32 v20, 31, v20
	v_lshl_add_u32 v22, v20, 2, v15
	ds_read_b32 v22, v22
	s_waitcnt lgkmcnt(0)
	v_cmpx_ne_u32_e32 -1, v22
	s_cbranch_execz .LBB1_46
; %bb.56:                               ;   in Loop: Header=BB1_51 Depth=3
	s_mov_b32 s37, 0
	s_mov_b32 s35, exec_lo
	v_cmpx_ne_u32_e64 v22, v11
	s_cbranch_execz .LBB1_45
; %bb.57:                               ;   in Loop: Header=BB1_51 Depth=3
	v_add_nc_u32_e32 v20, 3, v21
	s_mov_b32 s38, -1
	s_mov_b32 s37, -1
	s_mov_b32 s36, exec_lo
	v_and_b32_e32 v20, 31, v20
	v_lshl_add_u32 v21, v20, 2, v15
	ds_read_b32 v22, v21
                                        ; implicit-def: $vgpr21
	s_waitcnt lgkmcnt(0)
	v_cmpx_ne_u32_e32 -1, v22
	s_cbranch_execz .LBB1_44
; %bb.58:                               ;   in Loop: Header=BB1_51 Depth=3
	s_mov_b32 s37, 0
	s_mov_b32 s39, exec_lo
                                        ; implicit-def: $vgpr21
	v_cmpx_ne_u32_e64 v22, v11
	s_cbranch_execz .LBB1_43
; %bb.59:                               ;   in Loop: Header=BB1_51 Depth=3
	v_add_nc_u32_e32 v19, -4, v19
	v_add_nc_u32_e32 v21, 1, v20
	s_mov_b32 s37, exec_lo
	v_cmp_eq_u32_e32 vcc_lo, 0, v19
	s_orn2_b32 s38, vcc_lo, exec_lo
	s_branch .LBB1_43
.LBB1_60:                               ;   in Loop: Header=BB1_42 Depth=2
	s_or_b32 exec_lo, exec_lo, s19
	s_xor_b32 s19, s26, -1
	s_and_saveexec_b32 s26, s19
	s_xor_b32 s19, exec_lo, s26
	s_cbranch_execz .LBB1_41
; %bb.61:                               ;   in Loop: Header=BB1_42 Depth=2
	v_lshl_add_u32 v11, v20, 2, v16
	v_add_co_u32 v8, vcc_lo, s12, v8
	v_add_co_ci_u32_e64 v9, null, s13, v9, vcc_lo
	ds_read_b32 v19, v11
	s_waitcnt lgkmcnt(0)
	v_ashrrev_i32_e32 v20, 31, v19
	v_lshlrev_b64 v[19:20], 2, v[19:20]
	v_add_co_u32 v19, vcc_lo, s12, v19
	v_add_co_ci_u32_e64 v20, null, s13, v20, vcc_lo
	s_clause 0x1
	global_load_dword v8, v[8:9], off
	global_load_dword v9, v[19:20], off
	s_waitcnt vmcnt(0)
	v_fma_f32 v8, -v10, v8, v9
	global_store_dword v[19:20], v8, off
	s_branch .LBB1_41
.LBB1_62:
	s_or_b32 exec_lo, exec_lo, s0
	s_mov_b32 s6, -1
	s_mov_b32 s1, exec_lo
	s_waitcnt_vscnt null, 0x0
	buffer_gl0_inv
	v_cmpx_lt_i32_e32 -1, v5
	s_cbranch_execz .LBB1_78
; %bb.63:
	v_mov_b32_e32 v6, 0
	v_cmp_eq_u32_e64 s0, 0, v12
	v_lshlrev_b64 v[5:6], 2, v[5:6]
	v_add_co_u32 v7, vcc_lo, s12, v5
	v_add_co_ci_u32_e64 v8, null, s13, v6, vcc_lo
	global_load_dword v9, v[7:8], off
	s_waitcnt vmcnt(0)
	v_cmp_gt_f32_e32 vcc_lo, 0, v9
	v_cndmask_b32_e64 v5, v9, -v9, vcc_lo
	s_andn2_b32 vcc_lo, exec_lo, s3
	v_cvt_f64_f32_e32 v[5:6], v5
	s_cbranch_vccnz .LBB1_67
; %bb.64:
	v_cvt_f64_f32_e32 v[10:11], v13
	s_cmp_eq_u64 s[24:25], 8
	s_cselect_b32 vcc_lo, -1, 0
	v_cndmask_b32_e32 v3, v11, v3, vcc_lo
	v_cndmask_b32_e32 v2, v10, v2, vcc_lo
	v_cmp_ge_f64_e32 vcc_lo, v[2:3], v[5:6]
	s_and_b32 s6, s0, vcc_lo
	s_and_saveexec_b32 s3, s6
	s_cbranch_execz .LBB1_66
; %bb.65:
	global_store_dword v[7:8], v14, off
	s_waitcnt_vscnt null, 0x0
	buffer_gl1_inv
	buffer_gl0_inv
.LBB1_66:
	s_or_b32 exec_lo, exec_lo, s3
	s_mov_b32 s6, 0
.LBB1_67:
	s_andn2_b32 vcc_lo, exec_lo, s6
	s_cbranch_vccnz .LBB1_78
; %bb.68:
	s_load_dwordx2 s[4:5], s[4:5], 0x48
	v_add_nc_u32_e32 v2, s2, v4
	s_waitcnt lgkmcnt(0)
	v_cmp_ge_f64_e32 vcc_lo, s[4:5], v[5:6]
	s_and_b32 s3, s0, vcc_lo
	s_and_saveexec_b32 s2, s3
	s_cbranch_execz .LBB1_73
; %bb.69:
	s_mov_b32 s4, exec_lo
	s_brev_b32 s3, -2
.LBB1_70:                               ; =>This Inner Loop Header: Depth=1
	s_ff1_i32_b32 s5, s4
	v_readlane_b32 s6, v2, s5
	s_lshl_b32 s5, 1, s5
	s_andn2_b32 s4, s4, s5
	s_min_i32 s3, s3, s6
	s_cmp_lg_u32 s4, 0
	s_cbranch_scc1 .LBB1_70
; %bb.71:
	v_mbcnt_lo_u32_b32 v3, exec_lo, 0
	s_mov_b32 s4, exec_lo
	v_cmpx_eq_u32_e32 0, v3
	s_xor_b32 s4, exec_lo, s4
	s_cbranch_execz .LBB1_73
; %bb.72:
	v_mov_b32_e32 v3, 0
	v_mov_b32_e32 v4, s3
	global_atomic_smin v3, v4, s[22:23]
.LBB1_73:
	s_or_b32 exec_lo, exec_lo, s2
	v_cmp_eq_f32_e32 vcc_lo, 0, v9
	s_and_b32 s0, s0, vcc_lo
	s_and_b32 exec_lo, exec_lo, s0
	s_cbranch_execz .LBB1_78
; %bb.74:
	s_mov_b32 s2, exec_lo
	s_brev_b32 s0, -2
.LBB1_75:                               ; =>This Inner Loop Header: Depth=1
	s_ff1_i32_b32 s3, s2
	v_readlane_b32 s4, v2, s3
	s_lshl_b32 s3, 1, s3
	s_andn2_b32 s2, s2, s3
	s_min_i32 s0, s0, s4
	s_cmp_lg_u32 s2, 0
	s_cbranch_scc1 .LBB1_75
; %bb.76:
	v_mbcnt_lo_u32_b32 v2, exec_lo, 0
	s_mov_b32 s2, exec_lo
	v_cmpx_eq_u32_e32 0, v2
	s_xor_b32 s2, exec_lo, s2
	s_cbranch_execz .LBB1_78
; %bb.77:
	v_mov_b32_e32 v2, 0
	v_mov_b32_e32 v3, s0
	global_atomic_smin v2, v3, s[20:21]
.LBB1_78:
	s_or_b32 exec_lo, exec_lo, s1
	v_cmp_eq_u32_e32 vcc_lo, 0, v12
	s_waitcnt_vscnt null, 0x0
	buffer_gl1_inv
	buffer_gl0_inv
	s_and_b32 exec_lo, exec_lo, vcc_lo
	s_cbranch_execz .LBB1_80
; %bb.79:
	v_add_co_u32 v0, vcc_lo, s16, v0
	v_add_co_ci_u32_e64 v1, null, s17, v1, vcc_lo
	v_mov_b32_e32 v2, 1
	global_store_dword v[0:1], v2, off
.LBB1_80:
	s_endpgm
	.section	.rodata,"a",@progbits
	.p2align	6, 0x0
	.amdhsa_kernel _ZN9rocsparseL12csrilu0_hashILj256ELj32ELj1EfEEviPKiS2_PT2_S2_PiS2_S5_S5_d21rocsparse_index_base_imNS_24const_host_device_scalarIfEENS7_IdEENS7_IS3_EEb
		.amdhsa_group_segment_fixed_size 2048
		.amdhsa_private_segment_fixed_size 0
		.amdhsa_kernarg_size 124
		.amdhsa_user_sgpr_count 6
		.amdhsa_user_sgpr_private_segment_buffer 1
		.amdhsa_user_sgpr_dispatch_ptr 0
		.amdhsa_user_sgpr_queue_ptr 0
		.amdhsa_user_sgpr_kernarg_segment_ptr 1
		.amdhsa_user_sgpr_dispatch_id 0
		.amdhsa_user_sgpr_flat_scratch_init 0
		.amdhsa_user_sgpr_private_segment_size 0
		.amdhsa_wavefront_size32 1
		.amdhsa_uses_dynamic_stack 0
		.amdhsa_system_sgpr_private_segment_wavefront_offset 0
		.amdhsa_system_sgpr_workgroup_id_x 1
		.amdhsa_system_sgpr_workgroup_id_y 0
		.amdhsa_system_sgpr_workgroup_id_z 0
		.amdhsa_system_sgpr_workgroup_info 0
		.amdhsa_system_vgpr_workitem_id 0
		.amdhsa_next_free_vgpr 24
		.amdhsa_next_free_sgpr 40
		.amdhsa_reserve_vcc 1
		.amdhsa_reserve_flat_scratch 0
		.amdhsa_float_round_mode_32 0
		.amdhsa_float_round_mode_16_64 0
		.amdhsa_float_denorm_mode_32 3
		.amdhsa_float_denorm_mode_16_64 3
		.amdhsa_dx10_clamp 1
		.amdhsa_ieee_mode 1
		.amdhsa_fp16_overflow 0
		.amdhsa_workgroup_processor_mode 1
		.amdhsa_memory_ordered 1
		.amdhsa_forward_progress 1
		.amdhsa_shared_vgpr_count 0
		.amdhsa_exception_fp_ieee_invalid_op 0
		.amdhsa_exception_fp_denorm_src 0
		.amdhsa_exception_fp_ieee_div_zero 0
		.amdhsa_exception_fp_ieee_overflow 0
		.amdhsa_exception_fp_ieee_underflow 0
		.amdhsa_exception_fp_ieee_inexact 0
		.amdhsa_exception_int_div_zero 0
	.end_amdhsa_kernel
	.section	.text._ZN9rocsparseL12csrilu0_hashILj256ELj32ELj1EfEEviPKiS2_PT2_S2_PiS2_S5_S5_d21rocsparse_index_base_imNS_24const_host_device_scalarIfEENS7_IdEENS7_IS3_EEb,"axG",@progbits,_ZN9rocsparseL12csrilu0_hashILj256ELj32ELj1EfEEviPKiS2_PT2_S2_PiS2_S5_S5_d21rocsparse_index_base_imNS_24const_host_device_scalarIfEENS7_IdEENS7_IS3_EEb,comdat
.Lfunc_end1:
	.size	_ZN9rocsparseL12csrilu0_hashILj256ELj32ELj1EfEEviPKiS2_PT2_S2_PiS2_S5_S5_d21rocsparse_index_base_imNS_24const_host_device_scalarIfEENS7_IdEENS7_IS3_EEb, .Lfunc_end1-_ZN9rocsparseL12csrilu0_hashILj256ELj32ELj1EfEEviPKiS2_PT2_S2_PiS2_S5_S5_d21rocsparse_index_base_imNS_24const_host_device_scalarIfEENS7_IdEENS7_IS3_EEb
                                        ; -- End function
	.set _ZN9rocsparseL12csrilu0_hashILj256ELj32ELj1EfEEviPKiS2_PT2_S2_PiS2_S5_S5_d21rocsparse_index_base_imNS_24const_host_device_scalarIfEENS7_IdEENS7_IS3_EEb.num_vgpr, 24
	.set _ZN9rocsparseL12csrilu0_hashILj256ELj32ELj1EfEEviPKiS2_PT2_S2_PiS2_S5_S5_d21rocsparse_index_base_imNS_24const_host_device_scalarIfEENS7_IdEENS7_IS3_EEb.num_agpr, 0
	.set _ZN9rocsparseL12csrilu0_hashILj256ELj32ELj1EfEEviPKiS2_PT2_S2_PiS2_S5_S5_d21rocsparse_index_base_imNS_24const_host_device_scalarIfEENS7_IdEENS7_IS3_EEb.numbered_sgpr, 40
	.set _ZN9rocsparseL12csrilu0_hashILj256ELj32ELj1EfEEviPKiS2_PT2_S2_PiS2_S5_S5_d21rocsparse_index_base_imNS_24const_host_device_scalarIfEENS7_IdEENS7_IS3_EEb.num_named_barrier, 0
	.set _ZN9rocsparseL12csrilu0_hashILj256ELj32ELj1EfEEviPKiS2_PT2_S2_PiS2_S5_S5_d21rocsparse_index_base_imNS_24const_host_device_scalarIfEENS7_IdEENS7_IS3_EEb.private_seg_size, 0
	.set _ZN9rocsparseL12csrilu0_hashILj256ELj32ELj1EfEEviPKiS2_PT2_S2_PiS2_S5_S5_d21rocsparse_index_base_imNS_24const_host_device_scalarIfEENS7_IdEENS7_IS3_EEb.uses_vcc, 1
	.set _ZN9rocsparseL12csrilu0_hashILj256ELj32ELj1EfEEviPKiS2_PT2_S2_PiS2_S5_S5_d21rocsparse_index_base_imNS_24const_host_device_scalarIfEENS7_IdEENS7_IS3_EEb.uses_flat_scratch, 0
	.set _ZN9rocsparseL12csrilu0_hashILj256ELj32ELj1EfEEviPKiS2_PT2_S2_PiS2_S5_S5_d21rocsparse_index_base_imNS_24const_host_device_scalarIfEENS7_IdEENS7_IS3_EEb.has_dyn_sized_stack, 0
	.set _ZN9rocsparseL12csrilu0_hashILj256ELj32ELj1EfEEviPKiS2_PT2_S2_PiS2_S5_S5_d21rocsparse_index_base_imNS_24const_host_device_scalarIfEENS7_IdEENS7_IS3_EEb.has_recursion, 0
	.set _ZN9rocsparseL12csrilu0_hashILj256ELj32ELj1EfEEviPKiS2_PT2_S2_PiS2_S5_S5_d21rocsparse_index_base_imNS_24const_host_device_scalarIfEENS7_IdEENS7_IS3_EEb.has_indirect_call, 0
	.section	.AMDGPU.csdata,"",@progbits
; Kernel info:
; codeLenInByte = 2580
; TotalNumSgprs: 42
; NumVgprs: 24
; ScratchSize: 0
; MemoryBound: 0
; FloatMode: 240
; IeeeMode: 1
; LDSByteSize: 2048 bytes/workgroup (compile time only)
; SGPRBlocks: 0
; VGPRBlocks: 2
; NumSGPRsForWavesPerEU: 42
; NumVGPRsForWavesPerEU: 24
; Occupancy: 16
; WaveLimiterHint : 1
; COMPUTE_PGM_RSRC2:SCRATCH_EN: 0
; COMPUTE_PGM_RSRC2:USER_SGPR: 6
; COMPUTE_PGM_RSRC2:TRAP_HANDLER: 0
; COMPUTE_PGM_RSRC2:TGID_X_EN: 1
; COMPUTE_PGM_RSRC2:TGID_Y_EN: 0
; COMPUTE_PGM_RSRC2:TGID_Z_EN: 0
; COMPUTE_PGM_RSRC2:TIDIG_COMP_CNT: 0
	.section	.text._ZN9rocsparseL12csrilu0_hashILj256ELj32ELj2EfEEviPKiS2_PT2_S2_PiS2_S5_S5_d21rocsparse_index_base_imNS_24const_host_device_scalarIfEENS7_IdEENS7_IS3_EEb,"axG",@progbits,_ZN9rocsparseL12csrilu0_hashILj256ELj32ELj2EfEEviPKiS2_PT2_S2_PiS2_S5_S5_d21rocsparse_index_base_imNS_24const_host_device_scalarIfEENS7_IdEENS7_IS3_EEb,comdat
	.globl	_ZN9rocsparseL12csrilu0_hashILj256ELj32ELj2EfEEviPKiS2_PT2_S2_PiS2_S5_S5_d21rocsparse_index_base_imNS_24const_host_device_scalarIfEENS7_IdEENS7_IS3_EEb ; -- Begin function _ZN9rocsparseL12csrilu0_hashILj256ELj32ELj2EfEEviPKiS2_PT2_S2_PiS2_S5_S5_d21rocsparse_index_base_imNS_24const_host_device_scalarIfEENS7_IdEENS7_IS3_EEb
	.p2align	8
	.type	_ZN9rocsparseL12csrilu0_hashILj256ELj32ELj2EfEEviPKiS2_PT2_S2_PiS2_S5_S5_d21rocsparse_index_base_imNS_24const_host_device_scalarIfEENS7_IdEENS7_IS3_EEb,@function
_ZN9rocsparseL12csrilu0_hashILj256ELj32ELj2EfEEviPKiS2_PT2_S2_PiS2_S5_S5_d21rocsparse_index_base_imNS_24const_host_device_scalarIfEENS7_IdEENS7_IS3_EEb: ; @_ZN9rocsparseL12csrilu0_hashILj256ELj32ELj2EfEEviPKiS2_PT2_S2_PiS2_S5_S5_d21rocsparse_index_base_imNS_24const_host_device_scalarIfEENS7_IdEENS7_IS3_EEb
; %bb.0:
	s_clause 0x2
	s_load_dword s0, s[4:5], 0x78
	s_load_dwordx2 s[2:3], s[4:5], 0x50
	s_load_dwordx8 s[24:31], s[4:5], 0x58
	s_waitcnt lgkmcnt(0)
	s_bitcmp1_b32 s0, 0
	s_cselect_b32 s0, -1, 0
	s_cmp_eq_u32 s3, 0
	s_cselect_b32 s7, -1, 0
	s_cmp_lg_u32 s3, 0
	s_cselect_b32 s3, -1, 0
	s_or_b32 s9, s7, s0
	s_xor_b32 s8, s9, -1
	s_and_b32 s0, s7, exec_lo
	s_cselect_b32 s1, 0, s29
	s_cselect_b32 s0, 0, s28
	s_and_b32 vcc_lo, exec_lo, s9
	s_cbranch_vccnz .LBB2_2
; %bb.1:
	s_load_dword s0, s[26:27], 0x0
	s_waitcnt lgkmcnt(0)
	v_mov_b32_e32 v14, s0
	s_mov_b64 s[0:1], s[28:29]
	s_branch .LBB2_3
.LBB2_2:
	v_cndmask_b32_e64 v14, s26, 0, s7
.LBB2_3:
	v_mov_b32_e32 v4, s1
	v_cndmask_b32_e64 v1, 0, 1, s8
	v_mov_b32_e32 v3, s0
	s_andn2_b32 vcc_lo, exec_lo, s8
	s_cbranch_vccnz .LBB2_5
; %bb.4:
	v_mov_b32_e32 v2, s28
	v_mov_b32_e32 v3, s29
	flat_load_dwordx2 v[3:4], v[2:3]
.LBB2_5:
	v_cmp_ne_u32_e32 vcc_lo, 1, v1
	s_mov_b32 s0, 0
	s_cbranch_vccnz .LBB2_7
; %bb.6:
	s_load_dword s1, s[30:31], 0x0
	s_waitcnt lgkmcnt(0)
	v_mov_b32_e32 v15, s1
	s_branch .LBB2_8
.LBB2_7:
	v_cndmask_b32_e64 v15, s30, 0, s7
.LBB2_8:
	v_lshrrev_b32_e32 v1, 5, v0
	v_and_b32_e32 v13, 31, v0
	v_lshlrev_b32_e32 v5, 8, v1
	v_lshlrev_b32_e32 v6, 2, v13
	v_or_b32_e32 v2, 0xffffffe0, v13
	v_or3_b32 v5, v5, v6, 0x800
	v_mov_b32_e32 v6, -1
.LBB2_9:                                ; =>This Inner Loop Header: Depth=1
	v_add_co_u32 v2, s1, v2, 32
	s_xor_b32 s1, s1, -1
	ds_write_b32 v5, v6
	v_add_nc_u32_e32 v5, 0x80, v5
	s_and_b32 s1, exec_lo, s1
	s_or_b32 s0, s1, s0
	s_andn2_b32 exec_lo, exec_lo, s0
	s_cbranch_execnz .LBB2_9
; %bb.10:
	s_or_b32 exec_lo, exec_lo, s0
	s_load_dword s0, s[4:5], 0x0
	s_lshl_b32 s1, s6, 3
	s_waitcnt vmcnt(0) lgkmcnt(0)
	buffer_gl0_inv
	v_and_or_b32 v1, 0x7fffff8, s1, v1
	v_cmp_gt_i32_e32 vcc_lo, s0, v1
	s_and_saveexec_b32 s0, vcc_lo
	s_cbranch_execz .LBB2_82
; %bb.11:
	s_load_dwordx16 s[8:23], s[4:5], 0x8
	v_lshlrev_b32_e32 v1, 2, v1
	v_lshlrev_b32_e32 v0, 3, v0
	s_mov_b32 s0, exec_lo
	v_and_b32_e32 v0, 0x700, v0
	v_or_b32_e32 v16, 0x800, v0
	s_waitcnt lgkmcnt(0)
	global_load_dword v5, v1, s[18:19]
	s_waitcnt vmcnt(0)
	v_ashrrev_i32_e32 v6, 31, v5
	v_lshlrev_b64 v[1:2], 2, v[5:6]
	v_add_co_u32 v6, vcc_lo, s8, v1
	v_add_co_ci_u32_e64 v7, null, s9, v2, vcc_lo
	v_add_co_u32 v9, vcc_lo, s14, v1
	v_add_co_ci_u32_e64 v10, null, s15, v2, vcc_lo
	global_load_dwordx2 v[7:8], v[6:7], off
	global_load_dword v6, v[9:10], off
	s_waitcnt vmcnt(1)
	v_subrev_nc_u32_e32 v7, s2, v7
	v_subrev_nc_u32_e32 v10, s2, v8
	v_add_nc_u32_e32 v8, v7, v13
	v_cmpx_lt_i32_e64 v8, v10
	s_cbranch_execz .LBB2_34
; %bb.12:
	v_mov_b32_e32 v11, -1
	s_mov_b32 s1, 0
	s_branch .LBB2_14
.LBB2_13:                               ;   in Loop: Header=BB2_14 Depth=1
	s_or_b32 exec_lo, exec_lo, s6
	v_add_nc_u32_e32 v8, 32, v8
	v_cmp_ge_i32_e32 vcc_lo, v8, v10
	s_or_b32 s1, vcc_lo, s1
	s_andn2_b32 exec_lo, exec_lo, s1
	s_cbranch_execz .LBB2_34
.LBB2_14:                               ; =>This Loop Header: Depth=1
                                        ;     Child Loop BB2_23 Depth 2
	v_ashrrev_i32_e32 v9, 31, v8
	v_mov_b32_e32 v12, 64
	s_mov_b32 s6, 0
                                        ; implicit-def: $sgpr7
                                        ; implicit-def: $sgpr18
                                        ; implicit-def: $sgpr19
	v_lshlrev_b64 v[17:18], 2, v[8:9]
	v_add_co_u32 v17, vcc_lo, s10, v17
	v_add_co_ci_u32_e64 v18, null, s11, v18, vcc_lo
	global_load_dword v9, v[17:18], off
	s_waitcnt vmcnt(0)
	v_mul_lo_u32 v18, v9, 39
	s_branch .LBB2_23
.LBB2_15:                               ;   in Loop: Header=BB2_23 Depth=2
	s_or_b32 exec_lo, exec_lo, s36
	s_orn2_b32 s34, s34, exec_lo
	s_orn2_b32 s35, s35, exec_lo
.LBB2_16:                               ;   in Loop: Header=BB2_23 Depth=2
	s_or_b32 exec_lo, exec_lo, s33
	s_and_b32 s34, s34, exec_lo
	s_orn2_b32 s33, s35, exec_lo
.LBB2_17:                               ;   in Loop: Header=BB2_23 Depth=2
	s_or_b32 exec_lo, exec_lo, s31
	s_orn2_b32 s31, s34, exec_lo
	s_orn2_b32 s33, s33, exec_lo
.LBB2_18:                               ;   in Loop: Header=BB2_23 Depth=2
	s_or_b32 exec_lo, exec_lo, s30
	s_and_b32 s31, s31, exec_lo
	s_orn2_b32 s30, s33, exec_lo
.LBB2_19:                               ;   in Loop: Header=BB2_23 Depth=2
	s_or_b32 exec_lo, exec_lo, s29
	s_orn2_b32 s29, s31, exec_lo
	s_orn2_b32 s30, s30, exec_lo
.LBB2_20:                               ;   in Loop: Header=BB2_23 Depth=2
	s_or_b32 exec_lo, exec_lo, s28
	s_and_b32 s29, s29, exec_lo
	s_orn2_b32 s28, s30, exec_lo
.LBB2_21:                               ;   in Loop: Header=BB2_23 Depth=2
	s_or_b32 exec_lo, exec_lo, s27
	s_andn2_b32 s19, s19, exec_lo
	s_and_b32 s27, s29, exec_lo
	s_andn2_b32 s18, s18, exec_lo
	s_and_b32 s28, s28, exec_lo
	s_or_b32 s19, s19, s27
	s_or_b32 s18, s18, s28
.LBB2_22:                               ;   in Loop: Header=BB2_23 Depth=2
	s_or_b32 exec_lo, exec_lo, s26
	s_and_b32 s26, exec_lo, s18
	s_or_b32 s6, s26, s6
	s_andn2_b32 s7, s7, exec_lo
	s_and_b32 s26, s19, exec_lo
	s_or_b32 s7, s7, s26
	s_andn2_b32 exec_lo, exec_lo, s6
	s_cbranch_execz .LBB2_32
.LBB2_23:                               ;   Parent Loop BB2_14 Depth=1
                                        ; =>  This Inner Loop Header: Depth=2
	v_and_b32_e32 v17, 63, v18
	s_or_b32 s19, s19, exec_lo
	s_or_b32 s18, s18, exec_lo
	s_mov_b32 s26, exec_lo
	v_lshl_add_u32 v19, v17, 2, v16
	ds_read_b32 v20, v19
	s_waitcnt lgkmcnt(0)
	v_cmpx_ne_u32_e64 v20, v9
	s_cbranch_execz .LBB2_22
; %bb.24:                               ;   in Loop: Header=BB2_23 Depth=2
	ds_cmpst_rtn_b32 v19, v19, v11, v9
	s_mov_b32 s28, -1
	s_mov_b32 s29, 0
	s_mov_b32 s27, exec_lo
	s_waitcnt lgkmcnt(0)
	v_cmpx_ne_u32_e32 -1, v19
	s_cbranch_execz .LBB2_21
; %bb.25:                               ;   in Loop: Header=BB2_23 Depth=2
	v_add_nc_u32_e32 v17, 1, v18
	s_mov_b32 s30, -1
	s_mov_b32 s29, -1
	s_mov_b32 s28, exec_lo
	v_and_b32_e32 v17, 63, v17
	v_lshl_add_u32 v19, v17, 2, v16
	ds_read_b32 v20, v19
	s_waitcnt lgkmcnt(0)
	v_cmpx_ne_u32_e64 v20, v9
	s_cbranch_execz .LBB2_20
; %bb.26:                               ;   in Loop: Header=BB2_23 Depth=2
	ds_cmpst_rtn_b32 v19, v19, v11, v9
	s_mov_b32 s31, 0
	s_mov_b32 s29, exec_lo
	s_waitcnt lgkmcnt(0)
	v_cmpx_ne_u32_e32 -1, v19
	s_cbranch_execz .LBB2_19
; %bb.27:                               ;   in Loop: Header=BB2_23 Depth=2
	v_add_nc_u32_e32 v17, 2, v18
	s_mov_b32 s33, -1
	s_mov_b32 s31, -1
	s_mov_b32 s30, exec_lo
	v_and_b32_e32 v17, 63, v17
	v_lshl_add_u32 v19, v17, 2, v16
	ds_read_b32 v20, v19
	s_waitcnt lgkmcnt(0)
	v_cmpx_ne_u32_e64 v20, v9
	s_cbranch_execz .LBB2_18
; %bb.28:                               ;   in Loop: Header=BB2_23 Depth=2
	ds_cmpst_rtn_b32 v19, v19, v11, v9
	s_mov_b32 s34, 0
	s_mov_b32 s31, exec_lo
	s_waitcnt lgkmcnt(0)
	v_cmpx_ne_u32_e32 -1, v19
	s_cbranch_execz .LBB2_17
; %bb.29:                               ;   in Loop: Header=BB2_23 Depth=2
	v_add_nc_u32_e32 v17, 3, v18
	s_mov_b32 s35, -1
	s_mov_b32 s34, -1
	v_and_b32_e32 v17, 63, v17
	v_lshl_add_u32 v19, v17, 2, v16
	ds_read_b32 v18, v19
	s_waitcnt lgkmcnt(0)
	v_cmp_ne_u32_e32 vcc_lo, v18, v9
                                        ; implicit-def: $vgpr18
	s_and_saveexec_b32 s33, vcc_lo
	s_cbranch_execz .LBB2_16
; %bb.30:                               ;   in Loop: Header=BB2_23 Depth=2
	ds_cmpst_rtn_b32 v18, v19, v11, v9
	s_mov_b32 s34, 0
	s_waitcnt lgkmcnt(0)
	v_cmp_ne_u32_e32 vcc_lo, -1, v18
                                        ; implicit-def: $vgpr18
	s_and_saveexec_b32 s36, vcc_lo
	s_cbranch_execz .LBB2_15
; %bb.31:                               ;   in Loop: Header=BB2_23 Depth=2
	v_add_nc_u32_e32 v12, -4, v12
	v_add_nc_u32_e32 v18, 1, v17
	s_mov_b32 s34, exec_lo
	v_cmp_eq_u32_e32 vcc_lo, 0, v12
	s_orn2_b32 s35, vcc_lo, exec_lo
	s_branch .LBB2_15
.LBB2_32:                               ;   in Loop: Header=BB2_14 Depth=1
	s_or_b32 exec_lo, exec_lo, s6
	s_xor_b32 s6, s7, -1
	s_and_saveexec_b32 s7, s6
	s_xor_b32 s6, exec_lo, s7
	s_cbranch_execz .LBB2_13
; %bb.33:                               ;   in Loop: Header=BB2_14 Depth=1
	v_lshl_add_u32 v9, v17, 2, v0
	ds_write_b32 v9, v8
	s_branch .LBB2_13
.LBB2_34:
	s_or_b32 exec_lo, exec_lo, s0
	s_mov_b32 s0, exec_lo
	s_waitcnt vmcnt(0) lgkmcnt(0)
	buffer_gl0_inv
	v_cmpx_lt_i32_e64 v7, v6
	s_cbranch_execz .LBB2_64
; %bb.35:
	v_add_nc_u32_e32 v17, 1, v13
	s_mov_b32 s1, 0
	s_branch .LBB2_38
.LBB2_36:                               ;   in Loop: Header=BB2_38 Depth=1
	s_or_b32 exec_lo, exec_lo, s7
	v_add_nc_u32_e32 v7, 1, v7
	v_cmp_ge_i32_e32 vcc_lo, v7, v6
	s_orn2_b32 s7, vcc_lo, exec_lo
.LBB2_37:                               ;   in Loop: Header=BB2_38 Depth=1
	s_or_b32 exec_lo, exec_lo, s6
	s_and_b32 s6, exec_lo, s7
	s_or_b32 s1, s6, s1
	s_andn2_b32 exec_lo, exec_lo, s1
	s_cbranch_execz .LBB2_64
.LBB2_38:                               ; =>This Loop Header: Depth=1
                                        ;     Child Loop BB2_39 Depth 2
                                        ;     Child Loop BB2_44 Depth 2
                                        ;       Child Loop BB2_53 Depth 3
	v_ashrrev_i32_e32 v8, 31, v7
	s_mov_b32 s6, 0
	v_lshlrev_b64 v[9:10], 2, v[7:8]
	v_add_co_u32 v11, vcc_lo, s10, v9
	v_add_co_ci_u32_e64 v12, null, s11, v10, vcc_lo
	v_add_co_u32 v9, vcc_lo, s12, v9
	v_add_co_ci_u32_e64 v10, null, s13, v10, vcc_lo
	global_load_dword v8, v[11:12], off
	s_waitcnt vmcnt(0)
	v_subrev_nc_u32_e32 v11, s2, v8
	v_ashrrev_i32_e32 v12, 31, v11
	v_lshlrev_b64 v[11:12], 2, v[11:12]
	v_add_co_u32 v20, vcc_lo, s8, v11
	v_add_co_ci_u32_e64 v21, null, s9, v12, vcc_lo
	v_add_co_u32 v22, vcc_lo, s14, v11
	v_add_co_ci_u32_e64 v23, null, s15, v12, vcc_lo
	global_load_dword v19, v[9:10], off
	global_load_dword v8, v[20:21], off offset:4
	global_load_dword v20, v[22:23], off
	v_add_co_u32 v11, vcc_lo, s16, v11
	v_add_co_ci_u32_e64 v12, null, s17, v12, vcc_lo
.LBB2_39:                               ;   Parent Loop BB2_38 Depth=1
                                        ; =>  This Inner Loop Header: Depth=2
	global_load_dword v18, v[11:12], off glc dlc
	s_waitcnt vmcnt(0)
	v_cmp_ne_u32_e32 vcc_lo, 0, v18
	s_or_b32 s6, vcc_lo, s6
	s_andn2_b32 exec_lo, exec_lo, s6
	s_cbranch_execnz .LBB2_39
; %bb.40:                               ;   in Loop: Header=BB2_38 Depth=1
	s_or_b32 exec_lo, exec_lo, s6
	v_subrev_nc_u32_e32 v18, s2, v8
	v_cmp_eq_u32_e32 vcc_lo, -1, v20
	buffer_gl1_inv
	buffer_gl0_inv
	s_mov_b32 s7, -1
	s_mov_b32 s6, exec_lo
	v_add_nc_u32_e32 v8, -1, v18
	v_cndmask_b32_e32 v11, v20, v8, vcc_lo
	v_ashrrev_i32_e32 v12, 31, v11
	v_lshlrev_b64 v[20:21], 2, v[11:12]
	v_add_co_u32 v20, vcc_lo, s12, v20
	v_add_co_ci_u32_e64 v21, null, s13, v21, vcc_lo
	global_load_dword v12, v[20:21], off
	s_waitcnt vmcnt(0)
	v_cmpx_neq_f32_e32 0, v12
	s_cbranch_execz .LBB2_37
; %bb.41:                               ;   in Loop: Header=BB2_38 Depth=1
	v_div_scale_f32 v8, null, v12, v12, v19
	s_mov_b32 s7, exec_lo
	v_rcp_f32_e32 v20, v8
	v_fma_f32 v21, -v8, v20, 1.0
	v_fmac_f32_e32 v20, v21, v20
	v_div_scale_f32 v21, vcc_lo, v19, v12, v19
	v_mul_f32_e32 v22, v21, v20
	v_fma_f32 v23, -v8, v22, v21
	v_fmac_f32_e32 v22, v23, v20
	v_fma_f32 v8, -v8, v22, v21
	v_div_fmas_f32 v20, v8, v20, v22
	v_add_nc_u32_e32 v8, v17, v11
	v_div_fixup_f32 v11, v20, v12, v19
	global_store_dword v[9:10], v11, off
	v_cmpx_lt_i32_e64 v8, v18
	s_cbranch_execz .LBB2_36
; %bb.42:                               ;   in Loop: Header=BB2_38 Depth=1
	s_mov_b32 s18, 0
	s_branch .LBB2_44
.LBB2_43:                               ;   in Loop: Header=BB2_44 Depth=2
	s_or_b32 exec_lo, exec_lo, s19
	v_add_nc_u32_e32 v8, 32, v8
	v_cmp_ge_i32_e32 vcc_lo, v8, v18
	s_or_b32 s18, vcc_lo, s18
	s_andn2_b32 exec_lo, exec_lo, s18
	s_cbranch_execz .LBB2_36
.LBB2_44:                               ;   Parent Loop BB2_38 Depth=1
                                        ; =>  This Loop Header: Depth=2
                                        ;       Child Loop BB2_53 Depth 3
	v_ashrrev_i32_e32 v9, 31, v8
	s_mov_b32 s19, 0
                                        ; implicit-def: $sgpr26
                                        ; implicit-def: $sgpr27
                                        ; implicit-def: $sgpr28
	v_lshlrev_b64 v[9:10], 2, v[8:9]
	v_add_co_u32 v19, vcc_lo, s10, v9
	v_add_co_ci_u32_e64 v20, null, s11, v10, vcc_lo
	global_load_dword v12, v[19:20], off
	v_mov_b32_e32 v19, 64
	s_waitcnt vmcnt(0)
	v_mul_lo_u32 v21, v12, 39
	s_branch .LBB2_53
.LBB2_45:                               ;   in Loop: Header=BB2_53 Depth=3
	s_or_b32 exec_lo, exec_lo, s39
	s_orn2_b32 s37, s37, exec_lo
	s_orn2_b32 s38, s38, exec_lo
.LBB2_46:                               ;   in Loop: Header=BB2_53 Depth=3
	s_or_b32 exec_lo, exec_lo, s36
	s_and_b32 s37, s37, exec_lo
	s_orn2_b32 s36, s38, exec_lo
.LBB2_47:                               ;   in Loop: Header=BB2_53 Depth=3
	s_or_b32 exec_lo, exec_lo, s35
	s_orn2_b32 s35, s37, exec_lo
	s_orn2_b32 s36, s36, exec_lo
.LBB2_48:                               ;   in Loop: Header=BB2_53 Depth=3
	s_or_b32 exec_lo, exec_lo, s34
	s_and_b32 s35, s35, exec_lo
	s_orn2_b32 s34, s36, exec_lo
.LBB2_49:                               ;   in Loop: Header=BB2_53 Depth=3
	s_or_b32 exec_lo, exec_lo, s33
	s_orn2_b32 s33, s35, exec_lo
	s_orn2_b32 s34, s34, exec_lo
.LBB2_50:                               ;   in Loop: Header=BB2_53 Depth=3
	s_or_b32 exec_lo, exec_lo, s31
	s_and_b32 s33, s33, exec_lo
	s_orn2_b32 s31, s34, exec_lo
.LBB2_51:                               ;   in Loop: Header=BB2_53 Depth=3
	s_or_b32 exec_lo, exec_lo, s30
	s_andn2_b32 s28, s28, exec_lo
	s_and_b32 s30, s33, exec_lo
	s_andn2_b32 s27, s27, exec_lo
	s_and_b32 s31, s31, exec_lo
	s_or_b32 s28, s28, s30
	s_or_b32 s27, s27, s31
.LBB2_52:                               ;   in Loop: Header=BB2_53 Depth=3
	s_or_b32 exec_lo, exec_lo, s29
	s_and_b32 s29, exec_lo, s27
	s_or_b32 s19, s29, s19
	s_andn2_b32 s26, s26, exec_lo
	s_and_b32 s29, s28, exec_lo
	s_or_b32 s26, s26, s29
	s_andn2_b32 exec_lo, exec_lo, s19
	s_cbranch_execz .LBB2_62
.LBB2_53:                               ;   Parent Loop BB2_38 Depth=1
                                        ;     Parent Loop BB2_44 Depth=2
                                        ; =>    This Inner Loop Header: Depth=3
	v_and_b32_e32 v20, 63, v21
	s_or_b32 s28, s28, exec_lo
	s_or_b32 s27, s27, exec_lo
	s_mov_b32 s29, exec_lo
	v_lshl_add_u32 v22, v20, 2, v16
	ds_read_b32 v22, v22
	s_waitcnt lgkmcnt(0)
	v_cmpx_ne_u32_e32 -1, v22
	s_cbranch_execz .LBB2_52
; %bb.54:                               ;   in Loop: Header=BB2_53 Depth=3
	s_mov_b32 s31, -1
	s_mov_b32 s33, 0
	s_mov_b32 s30, exec_lo
	v_cmpx_ne_u32_e64 v22, v12
	s_cbranch_execz .LBB2_51
; %bb.55:                               ;   in Loop: Header=BB2_53 Depth=3
	v_add_nc_u32_e32 v20, 1, v21
	s_mov_b32 s34, -1
	s_mov_b32 s33, -1
	s_mov_b32 s31, exec_lo
	v_and_b32_e32 v20, 63, v20
	v_lshl_add_u32 v22, v20, 2, v16
	ds_read_b32 v22, v22
	s_waitcnt lgkmcnt(0)
	v_cmpx_ne_u32_e32 -1, v22
	s_cbranch_execz .LBB2_50
; %bb.56:                               ;   in Loop: Header=BB2_53 Depth=3
	s_mov_b32 s35, 0
	s_mov_b32 s33, exec_lo
	v_cmpx_ne_u32_e64 v22, v12
	s_cbranch_execz .LBB2_49
; %bb.57:                               ;   in Loop: Header=BB2_53 Depth=3
	v_add_nc_u32_e32 v20, 2, v21
	s_mov_b32 s36, -1
	s_mov_b32 s35, -1
	s_mov_b32 s34, exec_lo
	v_and_b32_e32 v20, 63, v20
	v_lshl_add_u32 v22, v20, 2, v16
	ds_read_b32 v22, v22
	s_waitcnt lgkmcnt(0)
	v_cmpx_ne_u32_e32 -1, v22
	s_cbranch_execz .LBB2_48
; %bb.58:                               ;   in Loop: Header=BB2_53 Depth=3
	s_mov_b32 s37, 0
	s_mov_b32 s35, exec_lo
	v_cmpx_ne_u32_e64 v22, v12
	s_cbranch_execz .LBB2_47
; %bb.59:                               ;   in Loop: Header=BB2_53 Depth=3
	v_add_nc_u32_e32 v20, 3, v21
	s_mov_b32 s38, -1
	s_mov_b32 s37, -1
	s_mov_b32 s36, exec_lo
	v_and_b32_e32 v20, 63, v20
	v_lshl_add_u32 v21, v20, 2, v16
	ds_read_b32 v22, v21
                                        ; implicit-def: $vgpr21
	s_waitcnt lgkmcnt(0)
	v_cmpx_ne_u32_e32 -1, v22
	s_cbranch_execz .LBB2_46
; %bb.60:                               ;   in Loop: Header=BB2_53 Depth=3
	s_mov_b32 s37, 0
	s_mov_b32 s39, exec_lo
                                        ; implicit-def: $vgpr21
	v_cmpx_ne_u32_e64 v22, v12
	s_cbranch_execz .LBB2_45
; %bb.61:                               ;   in Loop: Header=BB2_53 Depth=3
	v_add_nc_u32_e32 v19, -4, v19
	v_add_nc_u32_e32 v21, 1, v20
	s_mov_b32 s37, exec_lo
	v_cmp_eq_u32_e32 vcc_lo, 0, v19
	s_orn2_b32 s38, vcc_lo, exec_lo
	s_branch .LBB2_45
.LBB2_62:                               ;   in Loop: Header=BB2_44 Depth=2
	s_or_b32 exec_lo, exec_lo, s19
	s_xor_b32 s19, s26, -1
	s_and_saveexec_b32 s26, s19
	s_xor_b32 s19, exec_lo, s26
	s_cbranch_execz .LBB2_43
; %bb.63:                               ;   in Loop: Header=BB2_44 Depth=2
	v_lshl_add_u32 v12, v20, 2, v0
	v_add_co_u32 v9, vcc_lo, s12, v9
	v_add_co_ci_u32_e64 v10, null, s13, v10, vcc_lo
	ds_read_b32 v19, v12
	s_waitcnt lgkmcnt(0)
	v_ashrrev_i32_e32 v20, 31, v19
	v_lshlrev_b64 v[19:20], 2, v[19:20]
	v_add_co_u32 v19, vcc_lo, s12, v19
	v_add_co_ci_u32_e64 v20, null, s13, v20, vcc_lo
	s_clause 0x1
	global_load_dword v9, v[9:10], off
	global_load_dword v10, v[19:20], off
	s_waitcnt vmcnt(0)
	v_fma_f32 v9, -v11, v9, v10
	global_store_dword v[19:20], v9, off
	s_branch .LBB2_43
.LBB2_64:
	s_or_b32 exec_lo, exec_lo, s0
	s_mov_b32 s6, -1
	s_mov_b32 s1, exec_lo
	s_waitcnt_vscnt null, 0x0
	buffer_gl0_inv
	v_cmpx_lt_i32_e32 -1, v6
	s_cbranch_execz .LBB2_80
; %bb.65:
	v_mov_b32_e32 v7, 0
	v_cmp_eq_u32_e64 s0, 0, v13
	v_lshlrev_b64 v[6:7], 2, v[6:7]
	v_add_co_u32 v8, vcc_lo, s12, v6
	v_add_co_ci_u32_e64 v9, null, s13, v7, vcc_lo
	global_load_dword v0, v[8:9], off
	s_waitcnt vmcnt(0)
	v_cmp_gt_f32_e32 vcc_lo, 0, v0
	v_cndmask_b32_e64 v6, v0, -v0, vcc_lo
	s_andn2_b32 vcc_lo, exec_lo, s3
	v_cvt_f64_f32_e32 v[6:7], v6
	s_cbranch_vccnz .LBB2_69
; %bb.66:
	v_cvt_f64_f32_e32 v[10:11], v14
	s_cmp_eq_u64 s[24:25], 8
	s_cselect_b32 vcc_lo, -1, 0
	v_cndmask_b32_e32 v4, v11, v4, vcc_lo
	v_cndmask_b32_e32 v3, v10, v3, vcc_lo
	v_cmp_ge_f64_e32 vcc_lo, v[3:4], v[6:7]
	s_and_b32 s6, s0, vcc_lo
	s_and_saveexec_b32 s3, s6
	s_cbranch_execz .LBB2_68
; %bb.67:
	global_store_dword v[8:9], v15, off
	s_waitcnt_vscnt null, 0x0
	buffer_gl1_inv
	buffer_gl0_inv
.LBB2_68:
	s_or_b32 exec_lo, exec_lo, s3
	s_mov_b32 s6, 0
.LBB2_69:
	s_andn2_b32 vcc_lo, exec_lo, s6
	s_cbranch_vccnz .LBB2_80
; %bb.70:
	s_load_dwordx2 s[4:5], s[4:5], 0x48
	v_add_nc_u32_e32 v3, s2, v5
	s_waitcnt lgkmcnt(0)
	v_cmp_ge_f64_e32 vcc_lo, s[4:5], v[6:7]
	s_and_b32 s3, s0, vcc_lo
	s_and_saveexec_b32 s2, s3
	s_cbranch_execz .LBB2_75
; %bb.71:
	s_mov_b32 s4, exec_lo
	s_brev_b32 s3, -2
.LBB2_72:                               ; =>This Inner Loop Header: Depth=1
	s_ff1_i32_b32 s5, s4
	v_readlane_b32 s6, v3, s5
	s_lshl_b32 s5, 1, s5
	s_andn2_b32 s4, s4, s5
	s_min_i32 s3, s3, s6
	s_cmp_lg_u32 s4, 0
	s_cbranch_scc1 .LBB2_72
; %bb.73:
	v_mbcnt_lo_u32_b32 v4, exec_lo, 0
	s_mov_b32 s4, exec_lo
	v_cmpx_eq_u32_e32 0, v4
	s_xor_b32 s4, exec_lo, s4
	s_cbranch_execz .LBB2_75
; %bb.74:
	v_mov_b32_e32 v4, 0
	v_mov_b32_e32 v5, s3
	global_atomic_smin v4, v5, s[22:23]
.LBB2_75:
	s_or_b32 exec_lo, exec_lo, s2
	v_cmp_eq_f32_e32 vcc_lo, 0, v0
	s_and_b32 s0, s0, vcc_lo
	s_and_b32 exec_lo, exec_lo, s0
	s_cbranch_execz .LBB2_80
; %bb.76:
	s_mov_b32 s2, exec_lo
	s_brev_b32 s0, -2
.LBB2_77:                               ; =>This Inner Loop Header: Depth=1
	s_ff1_i32_b32 s3, s2
	v_readlane_b32 s4, v3, s3
	s_lshl_b32 s3, 1, s3
	s_andn2_b32 s2, s2, s3
	s_min_i32 s0, s0, s4
	s_cmp_lg_u32 s2, 0
	s_cbranch_scc1 .LBB2_77
; %bb.78:
	v_mbcnt_lo_u32_b32 v0, exec_lo, 0
	s_mov_b32 s2, exec_lo
	v_cmpx_eq_u32_e32 0, v0
	s_xor_b32 s2, exec_lo, s2
	s_cbranch_execz .LBB2_80
; %bb.79:
	v_mov_b32_e32 v0, 0
	v_mov_b32_e32 v3, s0
	global_atomic_smin v0, v3, s[20:21]
.LBB2_80:
	s_or_b32 exec_lo, exec_lo, s1
	v_cmp_eq_u32_e32 vcc_lo, 0, v13
	s_waitcnt_vscnt null, 0x0
	buffer_gl1_inv
	buffer_gl0_inv
	s_and_b32 exec_lo, exec_lo, vcc_lo
	s_cbranch_execz .LBB2_82
; %bb.81:
	v_add_co_u32 v0, vcc_lo, s16, v1
	v_add_co_ci_u32_e64 v1, null, s17, v2, vcc_lo
	v_mov_b32_e32 v2, 1
	global_store_dword v[0:1], v2, off
.LBB2_82:
	s_endpgm
	.section	.rodata,"a",@progbits
	.p2align	6, 0x0
	.amdhsa_kernel _ZN9rocsparseL12csrilu0_hashILj256ELj32ELj2EfEEviPKiS2_PT2_S2_PiS2_S5_S5_d21rocsparse_index_base_imNS_24const_host_device_scalarIfEENS7_IdEENS7_IS3_EEb
		.amdhsa_group_segment_fixed_size 4096
		.amdhsa_private_segment_fixed_size 0
		.amdhsa_kernarg_size 124
		.amdhsa_user_sgpr_count 6
		.amdhsa_user_sgpr_private_segment_buffer 1
		.amdhsa_user_sgpr_dispatch_ptr 0
		.amdhsa_user_sgpr_queue_ptr 0
		.amdhsa_user_sgpr_kernarg_segment_ptr 1
		.amdhsa_user_sgpr_dispatch_id 0
		.amdhsa_user_sgpr_flat_scratch_init 0
		.amdhsa_user_sgpr_private_segment_size 0
		.amdhsa_wavefront_size32 1
		.amdhsa_uses_dynamic_stack 0
		.amdhsa_system_sgpr_private_segment_wavefront_offset 0
		.amdhsa_system_sgpr_workgroup_id_x 1
		.amdhsa_system_sgpr_workgroup_id_y 0
		.amdhsa_system_sgpr_workgroup_id_z 0
		.amdhsa_system_sgpr_workgroup_info 0
		.amdhsa_system_vgpr_workitem_id 0
		.amdhsa_next_free_vgpr 24
		.amdhsa_next_free_sgpr 40
		.amdhsa_reserve_vcc 1
		.amdhsa_reserve_flat_scratch 0
		.amdhsa_float_round_mode_32 0
		.amdhsa_float_round_mode_16_64 0
		.amdhsa_float_denorm_mode_32 3
		.amdhsa_float_denorm_mode_16_64 3
		.amdhsa_dx10_clamp 1
		.amdhsa_ieee_mode 1
		.amdhsa_fp16_overflow 0
		.amdhsa_workgroup_processor_mode 1
		.amdhsa_memory_ordered 1
		.amdhsa_forward_progress 1
		.amdhsa_shared_vgpr_count 0
		.amdhsa_exception_fp_ieee_invalid_op 0
		.amdhsa_exception_fp_denorm_src 0
		.amdhsa_exception_fp_ieee_div_zero 0
		.amdhsa_exception_fp_ieee_overflow 0
		.amdhsa_exception_fp_ieee_underflow 0
		.amdhsa_exception_fp_ieee_inexact 0
		.amdhsa_exception_int_div_zero 0
	.end_amdhsa_kernel
	.section	.text._ZN9rocsparseL12csrilu0_hashILj256ELj32ELj2EfEEviPKiS2_PT2_S2_PiS2_S5_S5_d21rocsparse_index_base_imNS_24const_host_device_scalarIfEENS7_IdEENS7_IS3_EEb,"axG",@progbits,_ZN9rocsparseL12csrilu0_hashILj256ELj32ELj2EfEEviPKiS2_PT2_S2_PiS2_S5_S5_d21rocsparse_index_base_imNS_24const_host_device_scalarIfEENS7_IdEENS7_IS3_EEb,comdat
.Lfunc_end2:
	.size	_ZN9rocsparseL12csrilu0_hashILj256ELj32ELj2EfEEviPKiS2_PT2_S2_PiS2_S5_S5_d21rocsparse_index_base_imNS_24const_host_device_scalarIfEENS7_IdEENS7_IS3_EEb, .Lfunc_end2-_ZN9rocsparseL12csrilu0_hashILj256ELj32ELj2EfEEviPKiS2_PT2_S2_PiS2_S5_S5_d21rocsparse_index_base_imNS_24const_host_device_scalarIfEENS7_IdEENS7_IS3_EEb
                                        ; -- End function
	.set _ZN9rocsparseL12csrilu0_hashILj256ELj32ELj2EfEEviPKiS2_PT2_S2_PiS2_S5_S5_d21rocsparse_index_base_imNS_24const_host_device_scalarIfEENS7_IdEENS7_IS3_EEb.num_vgpr, 24
	.set _ZN9rocsparseL12csrilu0_hashILj256ELj32ELj2EfEEviPKiS2_PT2_S2_PiS2_S5_S5_d21rocsparse_index_base_imNS_24const_host_device_scalarIfEENS7_IdEENS7_IS3_EEb.num_agpr, 0
	.set _ZN9rocsparseL12csrilu0_hashILj256ELj32ELj2EfEEviPKiS2_PT2_S2_PiS2_S5_S5_d21rocsparse_index_base_imNS_24const_host_device_scalarIfEENS7_IdEENS7_IS3_EEb.numbered_sgpr, 40
	.set _ZN9rocsparseL12csrilu0_hashILj256ELj32ELj2EfEEviPKiS2_PT2_S2_PiS2_S5_S5_d21rocsparse_index_base_imNS_24const_host_device_scalarIfEENS7_IdEENS7_IS3_EEb.num_named_barrier, 0
	.set _ZN9rocsparseL12csrilu0_hashILj256ELj32ELj2EfEEviPKiS2_PT2_S2_PiS2_S5_S5_d21rocsparse_index_base_imNS_24const_host_device_scalarIfEENS7_IdEENS7_IS3_EEb.private_seg_size, 0
	.set _ZN9rocsparseL12csrilu0_hashILj256ELj32ELj2EfEEviPKiS2_PT2_S2_PiS2_S5_S5_d21rocsparse_index_base_imNS_24const_host_device_scalarIfEENS7_IdEENS7_IS3_EEb.uses_vcc, 1
	.set _ZN9rocsparseL12csrilu0_hashILj256ELj32ELj2EfEEviPKiS2_PT2_S2_PiS2_S5_S5_d21rocsparse_index_base_imNS_24const_host_device_scalarIfEENS7_IdEENS7_IS3_EEb.uses_flat_scratch, 0
	.set _ZN9rocsparseL12csrilu0_hashILj256ELj32ELj2EfEEviPKiS2_PT2_S2_PiS2_S5_S5_d21rocsparse_index_base_imNS_24const_host_device_scalarIfEENS7_IdEENS7_IS3_EEb.has_dyn_sized_stack, 0
	.set _ZN9rocsparseL12csrilu0_hashILj256ELj32ELj2EfEEviPKiS2_PT2_S2_PiS2_S5_S5_d21rocsparse_index_base_imNS_24const_host_device_scalarIfEENS7_IdEENS7_IS3_EEb.has_recursion, 0
	.set _ZN9rocsparseL12csrilu0_hashILj256ELj32ELj2EfEEviPKiS2_PT2_S2_PiS2_S5_S5_d21rocsparse_index_base_imNS_24const_host_device_scalarIfEENS7_IdEENS7_IS3_EEb.has_indirect_call, 0
	.section	.AMDGPU.csdata,"",@progbits
; Kernel info:
; codeLenInByte = 2640
; TotalNumSgprs: 42
; NumVgprs: 24
; ScratchSize: 0
; MemoryBound: 0
; FloatMode: 240
; IeeeMode: 1
; LDSByteSize: 4096 bytes/workgroup (compile time only)
; SGPRBlocks: 0
; VGPRBlocks: 2
; NumSGPRsForWavesPerEU: 42
; NumVGPRsForWavesPerEU: 24
; Occupancy: 16
; WaveLimiterHint : 1
; COMPUTE_PGM_RSRC2:SCRATCH_EN: 0
; COMPUTE_PGM_RSRC2:USER_SGPR: 6
; COMPUTE_PGM_RSRC2:TRAP_HANDLER: 0
; COMPUTE_PGM_RSRC2:TGID_X_EN: 1
; COMPUTE_PGM_RSRC2:TGID_Y_EN: 0
; COMPUTE_PGM_RSRC2:TGID_Z_EN: 0
; COMPUTE_PGM_RSRC2:TIDIG_COMP_CNT: 0
	.section	.text._ZN9rocsparseL12csrilu0_hashILj256ELj32ELj4EfEEviPKiS2_PT2_S2_PiS2_S5_S5_d21rocsparse_index_base_imNS_24const_host_device_scalarIfEENS7_IdEENS7_IS3_EEb,"axG",@progbits,_ZN9rocsparseL12csrilu0_hashILj256ELj32ELj4EfEEviPKiS2_PT2_S2_PiS2_S5_S5_d21rocsparse_index_base_imNS_24const_host_device_scalarIfEENS7_IdEENS7_IS3_EEb,comdat
	.globl	_ZN9rocsparseL12csrilu0_hashILj256ELj32ELj4EfEEviPKiS2_PT2_S2_PiS2_S5_S5_d21rocsparse_index_base_imNS_24const_host_device_scalarIfEENS7_IdEENS7_IS3_EEb ; -- Begin function _ZN9rocsparseL12csrilu0_hashILj256ELj32ELj4EfEEviPKiS2_PT2_S2_PiS2_S5_S5_d21rocsparse_index_base_imNS_24const_host_device_scalarIfEENS7_IdEENS7_IS3_EEb
	.p2align	8
	.type	_ZN9rocsparseL12csrilu0_hashILj256ELj32ELj4EfEEviPKiS2_PT2_S2_PiS2_S5_S5_d21rocsparse_index_base_imNS_24const_host_device_scalarIfEENS7_IdEENS7_IS3_EEb,@function
_ZN9rocsparseL12csrilu0_hashILj256ELj32ELj4EfEEviPKiS2_PT2_S2_PiS2_S5_S5_d21rocsparse_index_base_imNS_24const_host_device_scalarIfEENS7_IdEENS7_IS3_EEb: ; @_ZN9rocsparseL12csrilu0_hashILj256ELj32ELj4EfEEviPKiS2_PT2_S2_PiS2_S5_S5_d21rocsparse_index_base_imNS_24const_host_device_scalarIfEENS7_IdEENS7_IS3_EEb
; %bb.0:
	s_clause 0x2
	s_load_dword s0, s[4:5], 0x78
	s_load_dwordx2 s[2:3], s[4:5], 0x50
	s_load_dwordx8 s[24:31], s[4:5], 0x58
	s_waitcnt lgkmcnt(0)
	s_bitcmp1_b32 s0, 0
	s_cselect_b32 s0, -1, 0
	s_cmp_eq_u32 s3, 0
	s_cselect_b32 s7, -1, 0
	s_cmp_lg_u32 s3, 0
	s_cselect_b32 s3, -1, 0
	s_or_b32 s9, s7, s0
	s_xor_b32 s8, s9, -1
	s_and_b32 s0, s7, exec_lo
	s_cselect_b32 s1, 0, s29
	s_cselect_b32 s0, 0, s28
	s_and_b32 vcc_lo, exec_lo, s9
	s_cbranch_vccnz .LBB3_2
; %bb.1:
	s_load_dword s0, s[26:27], 0x0
	s_waitcnt lgkmcnt(0)
	v_mov_b32_e32 v14, s0
	s_mov_b64 s[0:1], s[28:29]
	s_branch .LBB3_3
.LBB3_2:
	v_cndmask_b32_e64 v14, s26, 0, s7
.LBB3_3:
	v_mov_b32_e32 v4, s1
	v_cndmask_b32_e64 v1, 0, 1, s8
	v_mov_b32_e32 v3, s0
	s_andn2_b32 vcc_lo, exec_lo, s8
	s_cbranch_vccnz .LBB3_5
; %bb.4:
	v_mov_b32_e32 v2, s28
	v_mov_b32_e32 v3, s29
	flat_load_dwordx2 v[3:4], v[2:3]
.LBB3_5:
	v_cmp_ne_u32_e32 vcc_lo, 1, v1
	s_mov_b32 s0, 0
	s_cbranch_vccnz .LBB3_7
; %bb.6:
	s_load_dword s1, s[30:31], 0x0
	s_waitcnt lgkmcnt(0)
	v_mov_b32_e32 v15, s1
	s_branch .LBB3_8
.LBB3_7:
	v_cndmask_b32_e64 v15, s30, 0, s7
.LBB3_8:
	v_lshrrev_b32_e32 v1, 5, v0
	v_and_b32_e32 v13, 31, v0
	v_lshlrev_b32_e32 v5, 9, v1
	v_lshlrev_b32_e32 v6, 2, v13
	v_or_b32_e32 v2, 0xffffffe0, v13
	v_or3_b32 v5, v5, v6, 0x1000
	v_mov_b32_e32 v6, -1
.LBB3_9:                                ; =>This Inner Loop Header: Depth=1
	v_add_nc_u32_e32 v2, 32, v2
	ds_write_b32 v5, v6
	v_add_nc_u32_e32 v5, 0x80, v5
	v_cmp_lt_u32_e32 vcc_lo, 0x5f, v2
	s_or_b32 s0, vcc_lo, s0
	s_andn2_b32 exec_lo, exec_lo, s0
	s_cbranch_execnz .LBB3_9
; %bb.10:
	s_or_b32 exec_lo, exec_lo, s0
	s_load_dword s0, s[4:5], 0x0
	s_lshl_b32 s1, s6, 3
	s_waitcnt vmcnt(0) lgkmcnt(0)
	buffer_gl0_inv
	v_and_or_b32 v1, 0x7fffff8, s1, v1
	v_cmp_gt_i32_e32 vcc_lo, s0, v1
	s_and_saveexec_b32 s0, vcc_lo
	s_cbranch_execz .LBB3_82
; %bb.11:
	s_load_dwordx16 s[8:23], s[4:5], 0x8
	v_lshlrev_b32_e32 v1, 2, v1
	v_lshlrev_b32_e32 v0, 4, v0
	s_mov_b32 s0, exec_lo
	v_and_b32_e32 v0, 0xe00, v0
	v_or_b32_e32 v16, 0x1000, v0
	s_waitcnt lgkmcnt(0)
	global_load_dword v5, v1, s[18:19]
	s_waitcnt vmcnt(0)
	v_ashrrev_i32_e32 v6, 31, v5
	v_lshlrev_b64 v[1:2], 2, v[5:6]
	v_add_co_u32 v6, vcc_lo, s8, v1
	v_add_co_ci_u32_e64 v7, null, s9, v2, vcc_lo
	v_add_co_u32 v9, vcc_lo, s14, v1
	v_add_co_ci_u32_e64 v10, null, s15, v2, vcc_lo
	global_load_dwordx2 v[7:8], v[6:7], off
	global_load_dword v6, v[9:10], off
	s_waitcnt vmcnt(1)
	v_subrev_nc_u32_e32 v7, s2, v7
	v_subrev_nc_u32_e32 v10, s2, v8
	v_add_nc_u32_e32 v8, v7, v13
	v_cmpx_lt_i32_e64 v8, v10
	s_cbranch_execz .LBB3_34
; %bb.12:
	v_mov_b32_e32 v11, -1
	s_mov_b32 s1, 0
	s_branch .LBB3_14
.LBB3_13:                               ;   in Loop: Header=BB3_14 Depth=1
	s_or_b32 exec_lo, exec_lo, s6
	v_add_nc_u32_e32 v8, 32, v8
	v_cmp_ge_i32_e32 vcc_lo, v8, v10
	s_or_b32 s1, vcc_lo, s1
	s_andn2_b32 exec_lo, exec_lo, s1
	s_cbranch_execz .LBB3_34
.LBB3_14:                               ; =>This Loop Header: Depth=1
                                        ;     Child Loop BB3_23 Depth 2
	v_ashrrev_i32_e32 v9, 31, v8
	v_mov_b32_e32 v12, 0x80
	s_mov_b32 s6, 0
                                        ; implicit-def: $sgpr7
                                        ; implicit-def: $sgpr18
                                        ; implicit-def: $sgpr19
	v_lshlrev_b64 v[17:18], 2, v[8:9]
	v_add_co_u32 v17, vcc_lo, s10, v17
	v_add_co_ci_u32_e64 v18, null, s11, v18, vcc_lo
	global_load_dword v9, v[17:18], off
	s_waitcnt vmcnt(0)
	v_mul_lo_u32 v18, 0x67, v9
	s_branch .LBB3_23
.LBB3_15:                               ;   in Loop: Header=BB3_23 Depth=2
	s_or_b32 exec_lo, exec_lo, s36
	s_orn2_b32 s34, s34, exec_lo
	s_orn2_b32 s35, s35, exec_lo
.LBB3_16:                               ;   in Loop: Header=BB3_23 Depth=2
	s_or_b32 exec_lo, exec_lo, s33
	s_and_b32 s34, s34, exec_lo
	s_orn2_b32 s33, s35, exec_lo
.LBB3_17:                               ;   in Loop: Header=BB3_23 Depth=2
	s_or_b32 exec_lo, exec_lo, s31
	s_orn2_b32 s31, s34, exec_lo
	s_orn2_b32 s33, s33, exec_lo
.LBB3_18:                               ;   in Loop: Header=BB3_23 Depth=2
	s_or_b32 exec_lo, exec_lo, s30
	s_and_b32 s31, s31, exec_lo
	s_orn2_b32 s30, s33, exec_lo
.LBB3_19:                               ;   in Loop: Header=BB3_23 Depth=2
	s_or_b32 exec_lo, exec_lo, s29
	s_orn2_b32 s29, s31, exec_lo
	s_orn2_b32 s30, s30, exec_lo
.LBB3_20:                               ;   in Loop: Header=BB3_23 Depth=2
	s_or_b32 exec_lo, exec_lo, s28
	s_and_b32 s29, s29, exec_lo
	s_orn2_b32 s28, s30, exec_lo
.LBB3_21:                               ;   in Loop: Header=BB3_23 Depth=2
	s_or_b32 exec_lo, exec_lo, s27
	s_andn2_b32 s19, s19, exec_lo
	s_and_b32 s27, s29, exec_lo
	s_andn2_b32 s18, s18, exec_lo
	s_and_b32 s28, s28, exec_lo
	s_or_b32 s19, s19, s27
	s_or_b32 s18, s18, s28
.LBB3_22:                               ;   in Loop: Header=BB3_23 Depth=2
	s_or_b32 exec_lo, exec_lo, s26
	s_and_b32 s26, exec_lo, s18
	s_or_b32 s6, s26, s6
	s_andn2_b32 s7, s7, exec_lo
	s_and_b32 s26, s19, exec_lo
	s_or_b32 s7, s7, s26
	s_andn2_b32 exec_lo, exec_lo, s6
	s_cbranch_execz .LBB3_32
.LBB3_23:                               ;   Parent Loop BB3_14 Depth=1
                                        ; =>  This Inner Loop Header: Depth=2
	v_and_b32_e32 v17, 0x7f, v18
	s_or_b32 s19, s19, exec_lo
	s_or_b32 s18, s18, exec_lo
	s_mov_b32 s26, exec_lo
	v_lshl_add_u32 v19, v17, 2, v16
	ds_read_b32 v20, v19
	s_waitcnt lgkmcnt(0)
	v_cmpx_ne_u32_e64 v20, v9
	s_cbranch_execz .LBB3_22
; %bb.24:                               ;   in Loop: Header=BB3_23 Depth=2
	ds_cmpst_rtn_b32 v19, v19, v11, v9
	s_mov_b32 s28, -1
	s_mov_b32 s29, 0
	s_mov_b32 s27, exec_lo
	s_waitcnt lgkmcnt(0)
	v_cmpx_ne_u32_e32 -1, v19
	s_cbranch_execz .LBB3_21
; %bb.25:                               ;   in Loop: Header=BB3_23 Depth=2
	v_add_nc_u32_e32 v17, 1, v18
	s_mov_b32 s30, -1
	s_mov_b32 s29, -1
	s_mov_b32 s28, exec_lo
	v_and_b32_e32 v17, 0x7f, v17
	v_lshl_add_u32 v19, v17, 2, v16
	ds_read_b32 v20, v19
	s_waitcnt lgkmcnt(0)
	v_cmpx_ne_u32_e64 v20, v9
	s_cbranch_execz .LBB3_20
; %bb.26:                               ;   in Loop: Header=BB3_23 Depth=2
	ds_cmpst_rtn_b32 v19, v19, v11, v9
	s_mov_b32 s31, 0
	s_mov_b32 s29, exec_lo
	s_waitcnt lgkmcnt(0)
	v_cmpx_ne_u32_e32 -1, v19
	s_cbranch_execz .LBB3_19
; %bb.27:                               ;   in Loop: Header=BB3_23 Depth=2
	v_add_nc_u32_e32 v17, 2, v18
	s_mov_b32 s33, -1
	s_mov_b32 s31, -1
	s_mov_b32 s30, exec_lo
	v_and_b32_e32 v17, 0x7f, v17
	v_lshl_add_u32 v19, v17, 2, v16
	ds_read_b32 v20, v19
	s_waitcnt lgkmcnt(0)
	v_cmpx_ne_u32_e64 v20, v9
	s_cbranch_execz .LBB3_18
; %bb.28:                               ;   in Loop: Header=BB3_23 Depth=2
	ds_cmpst_rtn_b32 v19, v19, v11, v9
	s_mov_b32 s34, 0
	s_mov_b32 s31, exec_lo
	s_waitcnt lgkmcnt(0)
	v_cmpx_ne_u32_e32 -1, v19
	s_cbranch_execz .LBB3_17
; %bb.29:                               ;   in Loop: Header=BB3_23 Depth=2
	v_add_nc_u32_e32 v17, 3, v18
	s_mov_b32 s35, -1
	s_mov_b32 s34, -1
	v_and_b32_e32 v17, 0x7f, v17
	v_lshl_add_u32 v19, v17, 2, v16
	ds_read_b32 v18, v19
	s_waitcnt lgkmcnt(0)
	v_cmp_ne_u32_e32 vcc_lo, v18, v9
                                        ; implicit-def: $vgpr18
	s_and_saveexec_b32 s33, vcc_lo
	s_cbranch_execz .LBB3_16
; %bb.30:                               ;   in Loop: Header=BB3_23 Depth=2
	ds_cmpst_rtn_b32 v18, v19, v11, v9
	s_mov_b32 s34, 0
	s_waitcnt lgkmcnt(0)
	v_cmp_ne_u32_e32 vcc_lo, -1, v18
                                        ; implicit-def: $vgpr18
	s_and_saveexec_b32 s36, vcc_lo
	s_cbranch_execz .LBB3_15
; %bb.31:                               ;   in Loop: Header=BB3_23 Depth=2
	v_add_nc_u32_e32 v12, -4, v12
	v_add_nc_u32_e32 v18, 1, v17
	s_mov_b32 s34, exec_lo
	v_cmp_eq_u32_e32 vcc_lo, 0, v12
	s_orn2_b32 s35, vcc_lo, exec_lo
	s_branch .LBB3_15
.LBB3_32:                               ;   in Loop: Header=BB3_14 Depth=1
	s_or_b32 exec_lo, exec_lo, s6
	s_xor_b32 s6, s7, -1
	s_and_saveexec_b32 s7, s6
	s_xor_b32 s6, exec_lo, s7
	s_cbranch_execz .LBB3_13
; %bb.33:                               ;   in Loop: Header=BB3_14 Depth=1
	v_lshl_add_u32 v9, v17, 2, v0
	ds_write_b32 v9, v8
	s_branch .LBB3_13
.LBB3_34:
	s_or_b32 exec_lo, exec_lo, s0
	s_mov_b32 s0, exec_lo
	s_waitcnt vmcnt(0) lgkmcnt(0)
	buffer_gl0_inv
	v_cmpx_lt_i32_e64 v7, v6
	s_cbranch_execz .LBB3_64
; %bb.35:
	v_add_nc_u32_e32 v17, 1, v13
	s_mov_b32 s1, 0
	s_branch .LBB3_38
.LBB3_36:                               ;   in Loop: Header=BB3_38 Depth=1
	s_or_b32 exec_lo, exec_lo, s7
	v_add_nc_u32_e32 v7, 1, v7
	v_cmp_ge_i32_e32 vcc_lo, v7, v6
	s_orn2_b32 s7, vcc_lo, exec_lo
.LBB3_37:                               ;   in Loop: Header=BB3_38 Depth=1
	s_or_b32 exec_lo, exec_lo, s6
	s_and_b32 s6, exec_lo, s7
	s_or_b32 s1, s6, s1
	s_andn2_b32 exec_lo, exec_lo, s1
	s_cbranch_execz .LBB3_64
.LBB3_38:                               ; =>This Loop Header: Depth=1
                                        ;     Child Loop BB3_39 Depth 2
                                        ;     Child Loop BB3_44 Depth 2
                                        ;       Child Loop BB3_53 Depth 3
	v_ashrrev_i32_e32 v8, 31, v7
	s_mov_b32 s6, 0
	v_lshlrev_b64 v[9:10], 2, v[7:8]
	v_add_co_u32 v11, vcc_lo, s10, v9
	v_add_co_ci_u32_e64 v12, null, s11, v10, vcc_lo
	v_add_co_u32 v9, vcc_lo, s12, v9
	v_add_co_ci_u32_e64 v10, null, s13, v10, vcc_lo
	global_load_dword v8, v[11:12], off
	s_waitcnt vmcnt(0)
	v_subrev_nc_u32_e32 v11, s2, v8
	v_ashrrev_i32_e32 v12, 31, v11
	v_lshlrev_b64 v[11:12], 2, v[11:12]
	v_add_co_u32 v20, vcc_lo, s8, v11
	v_add_co_ci_u32_e64 v21, null, s9, v12, vcc_lo
	v_add_co_u32 v22, vcc_lo, s14, v11
	v_add_co_ci_u32_e64 v23, null, s15, v12, vcc_lo
	global_load_dword v19, v[9:10], off
	global_load_dword v8, v[20:21], off offset:4
	global_load_dword v20, v[22:23], off
	v_add_co_u32 v11, vcc_lo, s16, v11
	v_add_co_ci_u32_e64 v12, null, s17, v12, vcc_lo
.LBB3_39:                               ;   Parent Loop BB3_38 Depth=1
                                        ; =>  This Inner Loop Header: Depth=2
	global_load_dword v18, v[11:12], off glc dlc
	s_waitcnt vmcnt(0)
	v_cmp_ne_u32_e32 vcc_lo, 0, v18
	s_or_b32 s6, vcc_lo, s6
	s_andn2_b32 exec_lo, exec_lo, s6
	s_cbranch_execnz .LBB3_39
; %bb.40:                               ;   in Loop: Header=BB3_38 Depth=1
	s_or_b32 exec_lo, exec_lo, s6
	v_subrev_nc_u32_e32 v18, s2, v8
	v_cmp_eq_u32_e32 vcc_lo, -1, v20
	buffer_gl1_inv
	buffer_gl0_inv
	s_mov_b32 s7, -1
	s_mov_b32 s6, exec_lo
	v_add_nc_u32_e32 v8, -1, v18
	v_cndmask_b32_e32 v11, v20, v8, vcc_lo
	v_ashrrev_i32_e32 v12, 31, v11
	v_lshlrev_b64 v[20:21], 2, v[11:12]
	v_add_co_u32 v20, vcc_lo, s12, v20
	v_add_co_ci_u32_e64 v21, null, s13, v21, vcc_lo
	global_load_dword v12, v[20:21], off
	s_waitcnt vmcnt(0)
	v_cmpx_neq_f32_e32 0, v12
	s_cbranch_execz .LBB3_37
; %bb.41:                               ;   in Loop: Header=BB3_38 Depth=1
	v_div_scale_f32 v8, null, v12, v12, v19
	s_mov_b32 s7, exec_lo
	v_rcp_f32_e32 v20, v8
	v_fma_f32 v21, -v8, v20, 1.0
	v_fmac_f32_e32 v20, v21, v20
	v_div_scale_f32 v21, vcc_lo, v19, v12, v19
	v_mul_f32_e32 v22, v21, v20
	v_fma_f32 v23, -v8, v22, v21
	v_fmac_f32_e32 v22, v23, v20
	v_fma_f32 v8, -v8, v22, v21
	v_div_fmas_f32 v20, v8, v20, v22
	v_add_nc_u32_e32 v8, v17, v11
	v_div_fixup_f32 v11, v20, v12, v19
	global_store_dword v[9:10], v11, off
	v_cmpx_lt_i32_e64 v8, v18
	s_cbranch_execz .LBB3_36
; %bb.42:                               ;   in Loop: Header=BB3_38 Depth=1
	s_mov_b32 s18, 0
	s_branch .LBB3_44
.LBB3_43:                               ;   in Loop: Header=BB3_44 Depth=2
	s_or_b32 exec_lo, exec_lo, s19
	v_add_nc_u32_e32 v8, 32, v8
	v_cmp_ge_i32_e32 vcc_lo, v8, v18
	s_or_b32 s18, vcc_lo, s18
	s_andn2_b32 exec_lo, exec_lo, s18
	s_cbranch_execz .LBB3_36
.LBB3_44:                               ;   Parent Loop BB3_38 Depth=1
                                        ; =>  This Loop Header: Depth=2
                                        ;       Child Loop BB3_53 Depth 3
	v_ashrrev_i32_e32 v9, 31, v8
	s_mov_b32 s19, 0
                                        ; implicit-def: $sgpr26
                                        ; implicit-def: $sgpr27
                                        ; implicit-def: $sgpr28
	v_lshlrev_b64 v[9:10], 2, v[8:9]
	v_add_co_u32 v19, vcc_lo, s10, v9
	v_add_co_ci_u32_e64 v20, null, s11, v10, vcc_lo
	global_load_dword v12, v[19:20], off
	v_mov_b32_e32 v19, 0x80
	s_waitcnt vmcnt(0)
	v_mul_lo_u32 v21, 0x67, v12
	s_branch .LBB3_53
.LBB3_45:                               ;   in Loop: Header=BB3_53 Depth=3
	s_or_b32 exec_lo, exec_lo, s39
	s_orn2_b32 s37, s37, exec_lo
	s_orn2_b32 s38, s38, exec_lo
.LBB3_46:                               ;   in Loop: Header=BB3_53 Depth=3
	s_or_b32 exec_lo, exec_lo, s36
	s_and_b32 s37, s37, exec_lo
	s_orn2_b32 s36, s38, exec_lo
.LBB3_47:                               ;   in Loop: Header=BB3_53 Depth=3
	s_or_b32 exec_lo, exec_lo, s35
	s_orn2_b32 s35, s37, exec_lo
	s_orn2_b32 s36, s36, exec_lo
.LBB3_48:                               ;   in Loop: Header=BB3_53 Depth=3
	s_or_b32 exec_lo, exec_lo, s34
	s_and_b32 s35, s35, exec_lo
	s_orn2_b32 s34, s36, exec_lo
.LBB3_49:                               ;   in Loop: Header=BB3_53 Depth=3
	s_or_b32 exec_lo, exec_lo, s33
	s_orn2_b32 s33, s35, exec_lo
	s_orn2_b32 s34, s34, exec_lo
.LBB3_50:                               ;   in Loop: Header=BB3_53 Depth=3
	s_or_b32 exec_lo, exec_lo, s31
	s_and_b32 s33, s33, exec_lo
	s_orn2_b32 s31, s34, exec_lo
.LBB3_51:                               ;   in Loop: Header=BB3_53 Depth=3
	s_or_b32 exec_lo, exec_lo, s30
	s_andn2_b32 s28, s28, exec_lo
	s_and_b32 s30, s33, exec_lo
	s_andn2_b32 s27, s27, exec_lo
	s_and_b32 s31, s31, exec_lo
	s_or_b32 s28, s28, s30
	s_or_b32 s27, s27, s31
.LBB3_52:                               ;   in Loop: Header=BB3_53 Depth=3
	s_or_b32 exec_lo, exec_lo, s29
	s_and_b32 s29, exec_lo, s27
	s_or_b32 s19, s29, s19
	s_andn2_b32 s26, s26, exec_lo
	s_and_b32 s29, s28, exec_lo
	s_or_b32 s26, s26, s29
	s_andn2_b32 exec_lo, exec_lo, s19
	s_cbranch_execz .LBB3_62
.LBB3_53:                               ;   Parent Loop BB3_38 Depth=1
                                        ;     Parent Loop BB3_44 Depth=2
                                        ; =>    This Inner Loop Header: Depth=3
	v_and_b32_e32 v20, 0x7f, v21
	s_or_b32 s28, s28, exec_lo
	s_or_b32 s27, s27, exec_lo
	s_mov_b32 s29, exec_lo
	v_lshl_add_u32 v22, v20, 2, v16
	ds_read_b32 v22, v22
	s_waitcnt lgkmcnt(0)
	v_cmpx_ne_u32_e32 -1, v22
	s_cbranch_execz .LBB3_52
; %bb.54:                               ;   in Loop: Header=BB3_53 Depth=3
	s_mov_b32 s31, -1
	s_mov_b32 s33, 0
	s_mov_b32 s30, exec_lo
	v_cmpx_ne_u32_e64 v22, v12
	s_cbranch_execz .LBB3_51
; %bb.55:                               ;   in Loop: Header=BB3_53 Depth=3
	v_add_nc_u32_e32 v20, 1, v21
	s_mov_b32 s34, -1
	s_mov_b32 s33, -1
	s_mov_b32 s31, exec_lo
	v_and_b32_e32 v20, 0x7f, v20
	v_lshl_add_u32 v22, v20, 2, v16
	ds_read_b32 v22, v22
	s_waitcnt lgkmcnt(0)
	v_cmpx_ne_u32_e32 -1, v22
	s_cbranch_execz .LBB3_50
; %bb.56:                               ;   in Loop: Header=BB3_53 Depth=3
	s_mov_b32 s35, 0
	s_mov_b32 s33, exec_lo
	v_cmpx_ne_u32_e64 v22, v12
	s_cbranch_execz .LBB3_49
; %bb.57:                               ;   in Loop: Header=BB3_53 Depth=3
	v_add_nc_u32_e32 v20, 2, v21
	s_mov_b32 s36, -1
	s_mov_b32 s35, -1
	s_mov_b32 s34, exec_lo
	v_and_b32_e32 v20, 0x7f, v20
	v_lshl_add_u32 v22, v20, 2, v16
	ds_read_b32 v22, v22
	s_waitcnt lgkmcnt(0)
	v_cmpx_ne_u32_e32 -1, v22
	s_cbranch_execz .LBB3_48
; %bb.58:                               ;   in Loop: Header=BB3_53 Depth=3
	s_mov_b32 s37, 0
	s_mov_b32 s35, exec_lo
	v_cmpx_ne_u32_e64 v22, v12
	s_cbranch_execz .LBB3_47
; %bb.59:                               ;   in Loop: Header=BB3_53 Depth=3
	v_add_nc_u32_e32 v20, 3, v21
	s_mov_b32 s38, -1
	s_mov_b32 s37, -1
	s_mov_b32 s36, exec_lo
	v_and_b32_e32 v20, 0x7f, v20
	v_lshl_add_u32 v21, v20, 2, v16
	ds_read_b32 v22, v21
                                        ; implicit-def: $vgpr21
	s_waitcnt lgkmcnt(0)
	v_cmpx_ne_u32_e32 -1, v22
	s_cbranch_execz .LBB3_46
; %bb.60:                               ;   in Loop: Header=BB3_53 Depth=3
	s_mov_b32 s37, 0
	s_mov_b32 s39, exec_lo
                                        ; implicit-def: $vgpr21
	v_cmpx_ne_u32_e64 v22, v12
	s_cbranch_execz .LBB3_45
; %bb.61:                               ;   in Loop: Header=BB3_53 Depth=3
	v_add_nc_u32_e32 v19, -4, v19
	v_add_nc_u32_e32 v21, 1, v20
	s_mov_b32 s37, exec_lo
	v_cmp_eq_u32_e32 vcc_lo, 0, v19
	s_orn2_b32 s38, vcc_lo, exec_lo
	s_branch .LBB3_45
.LBB3_62:                               ;   in Loop: Header=BB3_44 Depth=2
	s_or_b32 exec_lo, exec_lo, s19
	s_xor_b32 s19, s26, -1
	s_and_saveexec_b32 s26, s19
	s_xor_b32 s19, exec_lo, s26
	s_cbranch_execz .LBB3_43
; %bb.63:                               ;   in Loop: Header=BB3_44 Depth=2
	v_lshl_add_u32 v12, v20, 2, v0
	v_add_co_u32 v9, vcc_lo, s12, v9
	v_add_co_ci_u32_e64 v10, null, s13, v10, vcc_lo
	ds_read_b32 v19, v12
	s_waitcnt lgkmcnt(0)
	v_ashrrev_i32_e32 v20, 31, v19
	v_lshlrev_b64 v[19:20], 2, v[19:20]
	v_add_co_u32 v19, vcc_lo, s12, v19
	v_add_co_ci_u32_e64 v20, null, s13, v20, vcc_lo
	s_clause 0x1
	global_load_dword v9, v[9:10], off
	global_load_dword v10, v[19:20], off
	s_waitcnt vmcnt(0)
	v_fma_f32 v9, -v11, v9, v10
	global_store_dword v[19:20], v9, off
	s_branch .LBB3_43
.LBB3_64:
	s_or_b32 exec_lo, exec_lo, s0
	s_mov_b32 s6, -1
	s_mov_b32 s1, exec_lo
	s_waitcnt_vscnt null, 0x0
	buffer_gl0_inv
	v_cmpx_lt_i32_e32 -1, v6
	s_cbranch_execz .LBB3_80
; %bb.65:
	v_mov_b32_e32 v7, 0
	v_cmp_eq_u32_e64 s0, 0, v13
	v_lshlrev_b64 v[6:7], 2, v[6:7]
	v_add_co_u32 v8, vcc_lo, s12, v6
	v_add_co_ci_u32_e64 v9, null, s13, v7, vcc_lo
	global_load_dword v0, v[8:9], off
	s_waitcnt vmcnt(0)
	v_cmp_gt_f32_e32 vcc_lo, 0, v0
	v_cndmask_b32_e64 v6, v0, -v0, vcc_lo
	s_andn2_b32 vcc_lo, exec_lo, s3
	v_cvt_f64_f32_e32 v[6:7], v6
	s_cbranch_vccnz .LBB3_69
; %bb.66:
	v_cvt_f64_f32_e32 v[10:11], v14
	s_cmp_eq_u64 s[24:25], 8
	s_cselect_b32 vcc_lo, -1, 0
	v_cndmask_b32_e32 v4, v11, v4, vcc_lo
	v_cndmask_b32_e32 v3, v10, v3, vcc_lo
	v_cmp_ge_f64_e32 vcc_lo, v[3:4], v[6:7]
	s_and_b32 s6, s0, vcc_lo
	s_and_saveexec_b32 s3, s6
	s_cbranch_execz .LBB3_68
; %bb.67:
	global_store_dword v[8:9], v15, off
	s_waitcnt_vscnt null, 0x0
	buffer_gl1_inv
	buffer_gl0_inv
.LBB3_68:
	s_or_b32 exec_lo, exec_lo, s3
	s_mov_b32 s6, 0
.LBB3_69:
	s_andn2_b32 vcc_lo, exec_lo, s6
	s_cbranch_vccnz .LBB3_80
; %bb.70:
	s_load_dwordx2 s[4:5], s[4:5], 0x48
	v_add_nc_u32_e32 v3, s2, v5
	s_waitcnt lgkmcnt(0)
	v_cmp_ge_f64_e32 vcc_lo, s[4:5], v[6:7]
	s_and_b32 s3, s0, vcc_lo
	s_and_saveexec_b32 s2, s3
	s_cbranch_execz .LBB3_75
; %bb.71:
	s_mov_b32 s4, exec_lo
	s_brev_b32 s3, -2
.LBB3_72:                               ; =>This Inner Loop Header: Depth=1
	s_ff1_i32_b32 s5, s4
	v_readlane_b32 s6, v3, s5
	s_lshl_b32 s5, 1, s5
	s_andn2_b32 s4, s4, s5
	s_min_i32 s3, s3, s6
	s_cmp_lg_u32 s4, 0
	s_cbranch_scc1 .LBB3_72
; %bb.73:
	v_mbcnt_lo_u32_b32 v4, exec_lo, 0
	s_mov_b32 s4, exec_lo
	v_cmpx_eq_u32_e32 0, v4
	s_xor_b32 s4, exec_lo, s4
	s_cbranch_execz .LBB3_75
; %bb.74:
	v_mov_b32_e32 v4, 0
	v_mov_b32_e32 v5, s3
	global_atomic_smin v4, v5, s[22:23]
.LBB3_75:
	s_or_b32 exec_lo, exec_lo, s2
	v_cmp_eq_f32_e32 vcc_lo, 0, v0
	s_and_b32 s0, s0, vcc_lo
	s_and_b32 exec_lo, exec_lo, s0
	s_cbranch_execz .LBB3_80
; %bb.76:
	s_mov_b32 s2, exec_lo
	s_brev_b32 s0, -2
.LBB3_77:                               ; =>This Inner Loop Header: Depth=1
	s_ff1_i32_b32 s3, s2
	v_readlane_b32 s4, v3, s3
	s_lshl_b32 s3, 1, s3
	s_andn2_b32 s2, s2, s3
	s_min_i32 s0, s0, s4
	s_cmp_lg_u32 s2, 0
	s_cbranch_scc1 .LBB3_77
; %bb.78:
	v_mbcnt_lo_u32_b32 v0, exec_lo, 0
	s_mov_b32 s2, exec_lo
	v_cmpx_eq_u32_e32 0, v0
	s_xor_b32 s2, exec_lo, s2
	s_cbranch_execz .LBB3_80
; %bb.79:
	v_mov_b32_e32 v0, 0
	v_mov_b32_e32 v3, s0
	global_atomic_smin v0, v3, s[20:21]
.LBB3_80:
	s_or_b32 exec_lo, exec_lo, s1
	v_cmp_eq_u32_e32 vcc_lo, 0, v13
	s_waitcnt_vscnt null, 0x0
	buffer_gl1_inv
	buffer_gl0_inv
	s_and_b32 exec_lo, exec_lo, vcc_lo
	s_cbranch_execz .LBB3_82
; %bb.81:
	v_add_co_u32 v0, vcc_lo, s16, v1
	v_add_co_ci_u32_e64 v1, null, s17, v2, vcc_lo
	v_mov_b32_e32 v2, 1
	global_store_dword v[0:1], v2, off
.LBB3_82:
	s_endpgm
	.section	.rodata,"a",@progbits
	.p2align	6, 0x0
	.amdhsa_kernel _ZN9rocsparseL12csrilu0_hashILj256ELj32ELj4EfEEviPKiS2_PT2_S2_PiS2_S5_S5_d21rocsparse_index_base_imNS_24const_host_device_scalarIfEENS7_IdEENS7_IS3_EEb
		.amdhsa_group_segment_fixed_size 8192
		.amdhsa_private_segment_fixed_size 0
		.amdhsa_kernarg_size 124
		.amdhsa_user_sgpr_count 6
		.amdhsa_user_sgpr_private_segment_buffer 1
		.amdhsa_user_sgpr_dispatch_ptr 0
		.amdhsa_user_sgpr_queue_ptr 0
		.amdhsa_user_sgpr_kernarg_segment_ptr 1
		.amdhsa_user_sgpr_dispatch_id 0
		.amdhsa_user_sgpr_flat_scratch_init 0
		.amdhsa_user_sgpr_private_segment_size 0
		.amdhsa_wavefront_size32 1
		.amdhsa_uses_dynamic_stack 0
		.amdhsa_system_sgpr_private_segment_wavefront_offset 0
		.amdhsa_system_sgpr_workgroup_id_x 1
		.amdhsa_system_sgpr_workgroup_id_y 0
		.amdhsa_system_sgpr_workgroup_id_z 0
		.amdhsa_system_sgpr_workgroup_info 0
		.amdhsa_system_vgpr_workitem_id 0
		.amdhsa_next_free_vgpr 24
		.amdhsa_next_free_sgpr 40
		.amdhsa_reserve_vcc 1
		.amdhsa_reserve_flat_scratch 0
		.amdhsa_float_round_mode_32 0
		.amdhsa_float_round_mode_16_64 0
		.amdhsa_float_denorm_mode_32 3
		.amdhsa_float_denorm_mode_16_64 3
		.amdhsa_dx10_clamp 1
		.amdhsa_ieee_mode 1
		.amdhsa_fp16_overflow 0
		.amdhsa_workgroup_processor_mode 1
		.amdhsa_memory_ordered 1
		.amdhsa_forward_progress 1
		.amdhsa_shared_vgpr_count 0
		.amdhsa_exception_fp_ieee_invalid_op 0
		.amdhsa_exception_fp_denorm_src 0
		.amdhsa_exception_fp_ieee_div_zero 0
		.amdhsa_exception_fp_ieee_overflow 0
		.amdhsa_exception_fp_ieee_underflow 0
		.amdhsa_exception_fp_ieee_inexact 0
		.amdhsa_exception_int_div_zero 0
	.end_amdhsa_kernel
	.section	.text._ZN9rocsparseL12csrilu0_hashILj256ELj32ELj4EfEEviPKiS2_PT2_S2_PiS2_S5_S5_d21rocsparse_index_base_imNS_24const_host_device_scalarIfEENS7_IdEENS7_IS3_EEb,"axG",@progbits,_ZN9rocsparseL12csrilu0_hashILj256ELj32ELj4EfEEviPKiS2_PT2_S2_PiS2_S5_S5_d21rocsparse_index_base_imNS_24const_host_device_scalarIfEENS7_IdEENS7_IS3_EEb,comdat
.Lfunc_end3:
	.size	_ZN9rocsparseL12csrilu0_hashILj256ELj32ELj4EfEEviPKiS2_PT2_S2_PiS2_S5_S5_d21rocsparse_index_base_imNS_24const_host_device_scalarIfEENS7_IdEENS7_IS3_EEb, .Lfunc_end3-_ZN9rocsparseL12csrilu0_hashILj256ELj32ELj4EfEEviPKiS2_PT2_S2_PiS2_S5_S5_d21rocsparse_index_base_imNS_24const_host_device_scalarIfEENS7_IdEENS7_IS3_EEb
                                        ; -- End function
	.set _ZN9rocsparseL12csrilu0_hashILj256ELj32ELj4EfEEviPKiS2_PT2_S2_PiS2_S5_S5_d21rocsparse_index_base_imNS_24const_host_device_scalarIfEENS7_IdEENS7_IS3_EEb.num_vgpr, 24
	.set _ZN9rocsparseL12csrilu0_hashILj256ELj32ELj4EfEEviPKiS2_PT2_S2_PiS2_S5_S5_d21rocsparse_index_base_imNS_24const_host_device_scalarIfEENS7_IdEENS7_IS3_EEb.num_agpr, 0
	.set _ZN9rocsparseL12csrilu0_hashILj256ELj32ELj4EfEEviPKiS2_PT2_S2_PiS2_S5_S5_d21rocsparse_index_base_imNS_24const_host_device_scalarIfEENS7_IdEENS7_IS3_EEb.numbered_sgpr, 40
	.set _ZN9rocsparseL12csrilu0_hashILj256ELj32ELj4EfEEviPKiS2_PT2_S2_PiS2_S5_S5_d21rocsparse_index_base_imNS_24const_host_device_scalarIfEENS7_IdEENS7_IS3_EEb.num_named_barrier, 0
	.set _ZN9rocsparseL12csrilu0_hashILj256ELj32ELj4EfEEviPKiS2_PT2_S2_PiS2_S5_S5_d21rocsparse_index_base_imNS_24const_host_device_scalarIfEENS7_IdEENS7_IS3_EEb.private_seg_size, 0
	.set _ZN9rocsparseL12csrilu0_hashILj256ELj32ELj4EfEEviPKiS2_PT2_S2_PiS2_S5_S5_d21rocsparse_index_base_imNS_24const_host_device_scalarIfEENS7_IdEENS7_IS3_EEb.uses_vcc, 1
	.set _ZN9rocsparseL12csrilu0_hashILj256ELj32ELj4EfEEviPKiS2_PT2_S2_PiS2_S5_S5_d21rocsparse_index_base_imNS_24const_host_device_scalarIfEENS7_IdEENS7_IS3_EEb.uses_flat_scratch, 0
	.set _ZN9rocsparseL12csrilu0_hashILj256ELj32ELj4EfEEviPKiS2_PT2_S2_PiS2_S5_S5_d21rocsparse_index_base_imNS_24const_host_device_scalarIfEENS7_IdEENS7_IS3_EEb.has_dyn_sized_stack, 0
	.set _ZN9rocsparseL12csrilu0_hashILj256ELj32ELj4EfEEviPKiS2_PT2_S2_PiS2_S5_S5_d21rocsparse_index_base_imNS_24const_host_device_scalarIfEENS7_IdEENS7_IS3_EEb.has_recursion, 0
	.set _ZN9rocsparseL12csrilu0_hashILj256ELj32ELj4EfEEviPKiS2_PT2_S2_PiS2_S5_S5_d21rocsparse_index_base_imNS_24const_host_device_scalarIfEENS7_IdEENS7_IS3_EEb.has_indirect_call, 0
	.section	.AMDGPU.csdata,"",@progbits
; Kernel info:
; codeLenInByte = 2684
; TotalNumSgprs: 42
; NumVgprs: 24
; ScratchSize: 0
; MemoryBound: 0
; FloatMode: 240
; IeeeMode: 1
; LDSByteSize: 8192 bytes/workgroup (compile time only)
; SGPRBlocks: 0
; VGPRBlocks: 2
; NumSGPRsForWavesPerEU: 42
; NumVGPRsForWavesPerEU: 24
; Occupancy: 16
; WaveLimiterHint : 1
; COMPUTE_PGM_RSRC2:SCRATCH_EN: 0
; COMPUTE_PGM_RSRC2:USER_SGPR: 6
; COMPUTE_PGM_RSRC2:TRAP_HANDLER: 0
; COMPUTE_PGM_RSRC2:TGID_X_EN: 1
; COMPUTE_PGM_RSRC2:TGID_Y_EN: 0
; COMPUTE_PGM_RSRC2:TGID_Z_EN: 0
; COMPUTE_PGM_RSRC2:TIDIG_COMP_CNT: 0
	.section	.text._ZN9rocsparseL12csrilu0_hashILj256ELj32ELj8EfEEviPKiS2_PT2_S2_PiS2_S5_S5_d21rocsparse_index_base_imNS_24const_host_device_scalarIfEENS7_IdEENS7_IS3_EEb,"axG",@progbits,_ZN9rocsparseL12csrilu0_hashILj256ELj32ELj8EfEEviPKiS2_PT2_S2_PiS2_S5_S5_d21rocsparse_index_base_imNS_24const_host_device_scalarIfEENS7_IdEENS7_IS3_EEb,comdat
	.globl	_ZN9rocsparseL12csrilu0_hashILj256ELj32ELj8EfEEviPKiS2_PT2_S2_PiS2_S5_S5_d21rocsparse_index_base_imNS_24const_host_device_scalarIfEENS7_IdEENS7_IS3_EEb ; -- Begin function _ZN9rocsparseL12csrilu0_hashILj256ELj32ELj8EfEEviPKiS2_PT2_S2_PiS2_S5_S5_d21rocsparse_index_base_imNS_24const_host_device_scalarIfEENS7_IdEENS7_IS3_EEb
	.p2align	8
	.type	_ZN9rocsparseL12csrilu0_hashILj256ELj32ELj8EfEEviPKiS2_PT2_S2_PiS2_S5_S5_d21rocsparse_index_base_imNS_24const_host_device_scalarIfEENS7_IdEENS7_IS3_EEb,@function
_ZN9rocsparseL12csrilu0_hashILj256ELj32ELj8EfEEviPKiS2_PT2_S2_PiS2_S5_S5_d21rocsparse_index_base_imNS_24const_host_device_scalarIfEENS7_IdEENS7_IS3_EEb: ; @_ZN9rocsparseL12csrilu0_hashILj256ELj32ELj8EfEEviPKiS2_PT2_S2_PiS2_S5_S5_d21rocsparse_index_base_imNS_24const_host_device_scalarIfEENS7_IdEENS7_IS3_EEb
; %bb.0:
	s_clause 0x2
	s_load_dword s0, s[4:5], 0x78
	s_load_dwordx2 s[2:3], s[4:5], 0x50
	s_load_dwordx8 s[24:31], s[4:5], 0x58
	s_waitcnt lgkmcnt(0)
	s_bitcmp1_b32 s0, 0
	s_cselect_b32 s0, -1, 0
	s_cmp_eq_u32 s3, 0
	s_cselect_b32 s7, -1, 0
	s_cmp_lg_u32 s3, 0
	s_cselect_b32 s3, -1, 0
	s_or_b32 s9, s7, s0
	s_xor_b32 s8, s9, -1
	s_and_b32 s0, s7, exec_lo
	s_cselect_b32 s1, 0, s29
	s_cselect_b32 s0, 0, s28
	s_and_b32 vcc_lo, exec_lo, s9
	s_cbranch_vccnz .LBB4_2
; %bb.1:
	s_load_dword s0, s[26:27], 0x0
	s_waitcnt lgkmcnt(0)
	v_mov_b32_e32 v14, s0
	s_mov_b64 s[0:1], s[28:29]
	s_branch .LBB4_3
.LBB4_2:
	v_cndmask_b32_e64 v14, s26, 0, s7
.LBB4_3:
	v_mov_b32_e32 v4, s1
	v_cndmask_b32_e64 v1, 0, 1, s8
	v_mov_b32_e32 v3, s0
	s_andn2_b32 vcc_lo, exec_lo, s8
	s_cbranch_vccnz .LBB4_5
; %bb.4:
	v_mov_b32_e32 v2, s28
	v_mov_b32_e32 v3, s29
	flat_load_dwordx2 v[3:4], v[2:3]
.LBB4_5:
	v_cmp_ne_u32_e32 vcc_lo, 1, v1
	s_mov_b32 s0, 0
	s_cbranch_vccnz .LBB4_7
; %bb.6:
	s_load_dword s1, s[30:31], 0x0
	s_waitcnt lgkmcnt(0)
	v_mov_b32_e32 v15, s1
	s_branch .LBB4_8
.LBB4_7:
	v_cndmask_b32_e64 v15, s30, 0, s7
.LBB4_8:
	v_lshrrev_b32_e32 v1, 5, v0
	v_and_b32_e32 v13, 31, v0
	v_lshlrev_b32_e32 v5, 10, v1
	v_lshlrev_b32_e32 v6, 2, v13
	v_or_b32_e32 v2, 0xffffffe0, v13
	v_or3_b32 v5, v5, v6, 0x2000
	v_mov_b32_e32 v6, -1
.LBB4_9:                                ; =>This Inner Loop Header: Depth=1
	v_add_nc_u32_e32 v2, 32, v2
	ds_write_b32 v5, v6
	v_add_nc_u32_e32 v5, 0x80, v5
	v_cmp_lt_u32_e32 vcc_lo, 0xdf, v2
	s_or_b32 s0, vcc_lo, s0
	s_andn2_b32 exec_lo, exec_lo, s0
	s_cbranch_execnz .LBB4_9
; %bb.10:
	s_or_b32 exec_lo, exec_lo, s0
	s_load_dword s0, s[4:5], 0x0
	s_lshl_b32 s1, s6, 3
	s_waitcnt vmcnt(0) lgkmcnt(0)
	buffer_gl0_inv
	v_and_or_b32 v1, 0x7fffff8, s1, v1
	v_cmp_gt_i32_e32 vcc_lo, s0, v1
	s_and_saveexec_b32 s0, vcc_lo
	s_cbranch_execz .LBB4_82
; %bb.11:
	s_load_dwordx16 s[8:23], s[4:5], 0x8
	v_lshlrev_b32_e32 v1, 2, v1
	v_lshlrev_b32_e32 v0, 5, v0
	s_mov_b32 s0, exec_lo
	v_and_b32_e32 v0, 0x1c00, v0
	v_or_b32_e32 v16, 0x2000, v0
	s_waitcnt lgkmcnt(0)
	global_load_dword v5, v1, s[18:19]
	s_waitcnt vmcnt(0)
	v_ashrrev_i32_e32 v6, 31, v5
	v_lshlrev_b64 v[1:2], 2, v[5:6]
	v_add_co_u32 v6, vcc_lo, s8, v1
	v_add_co_ci_u32_e64 v7, null, s9, v2, vcc_lo
	v_add_co_u32 v9, vcc_lo, s14, v1
	v_add_co_ci_u32_e64 v10, null, s15, v2, vcc_lo
	global_load_dwordx2 v[7:8], v[6:7], off
	global_load_dword v6, v[9:10], off
	s_waitcnt vmcnt(1)
	v_subrev_nc_u32_e32 v7, s2, v7
	v_subrev_nc_u32_e32 v10, s2, v8
	v_add_nc_u32_e32 v8, v7, v13
	v_cmpx_lt_i32_e64 v8, v10
	s_cbranch_execz .LBB4_34
; %bb.12:
	v_mov_b32_e32 v11, -1
	s_mov_b32 s1, 0
	s_branch .LBB4_14
.LBB4_13:                               ;   in Loop: Header=BB4_14 Depth=1
	s_or_b32 exec_lo, exec_lo, s6
	v_add_nc_u32_e32 v8, 32, v8
	v_cmp_ge_i32_e32 vcc_lo, v8, v10
	s_or_b32 s1, vcc_lo, s1
	s_andn2_b32 exec_lo, exec_lo, s1
	s_cbranch_execz .LBB4_34
.LBB4_14:                               ; =>This Loop Header: Depth=1
                                        ;     Child Loop BB4_23 Depth 2
	v_ashrrev_i32_e32 v9, 31, v8
	v_mov_b32_e32 v12, 0x100
	s_mov_b32 s6, 0
                                        ; implicit-def: $sgpr7
                                        ; implicit-def: $sgpr18
                                        ; implicit-def: $sgpr19
	v_lshlrev_b64 v[17:18], 2, v[8:9]
	v_add_co_u32 v17, vcc_lo, s10, v17
	v_add_co_ci_u32_e64 v18, null, s11, v18, vcc_lo
	global_load_dword v9, v[17:18], off
	s_waitcnt vmcnt(0)
	v_mul_lo_u32 v18, 0x67, v9
	s_branch .LBB4_23
.LBB4_15:                               ;   in Loop: Header=BB4_23 Depth=2
	s_or_b32 exec_lo, exec_lo, s36
	s_orn2_b32 s34, s34, exec_lo
	s_orn2_b32 s35, s35, exec_lo
.LBB4_16:                               ;   in Loop: Header=BB4_23 Depth=2
	s_or_b32 exec_lo, exec_lo, s33
	s_and_b32 s34, s34, exec_lo
	s_orn2_b32 s33, s35, exec_lo
.LBB4_17:                               ;   in Loop: Header=BB4_23 Depth=2
	s_or_b32 exec_lo, exec_lo, s31
	s_orn2_b32 s31, s34, exec_lo
	s_orn2_b32 s33, s33, exec_lo
.LBB4_18:                               ;   in Loop: Header=BB4_23 Depth=2
	s_or_b32 exec_lo, exec_lo, s30
	s_and_b32 s31, s31, exec_lo
	s_orn2_b32 s30, s33, exec_lo
.LBB4_19:                               ;   in Loop: Header=BB4_23 Depth=2
	s_or_b32 exec_lo, exec_lo, s29
	s_orn2_b32 s29, s31, exec_lo
	s_orn2_b32 s30, s30, exec_lo
.LBB4_20:                               ;   in Loop: Header=BB4_23 Depth=2
	s_or_b32 exec_lo, exec_lo, s28
	s_and_b32 s29, s29, exec_lo
	s_orn2_b32 s28, s30, exec_lo
.LBB4_21:                               ;   in Loop: Header=BB4_23 Depth=2
	s_or_b32 exec_lo, exec_lo, s27
	s_andn2_b32 s19, s19, exec_lo
	s_and_b32 s27, s29, exec_lo
	s_andn2_b32 s18, s18, exec_lo
	s_and_b32 s28, s28, exec_lo
	s_or_b32 s19, s19, s27
	s_or_b32 s18, s18, s28
.LBB4_22:                               ;   in Loop: Header=BB4_23 Depth=2
	s_or_b32 exec_lo, exec_lo, s26
	s_and_b32 s26, exec_lo, s18
	s_or_b32 s6, s26, s6
	s_andn2_b32 s7, s7, exec_lo
	s_and_b32 s26, s19, exec_lo
	s_or_b32 s7, s7, s26
	s_andn2_b32 exec_lo, exec_lo, s6
	s_cbranch_execz .LBB4_32
.LBB4_23:                               ;   Parent Loop BB4_14 Depth=1
                                        ; =>  This Inner Loop Header: Depth=2
	v_and_b32_e32 v17, 0xff, v18
	s_or_b32 s19, s19, exec_lo
	s_or_b32 s18, s18, exec_lo
	s_mov_b32 s26, exec_lo
	v_lshl_add_u32 v19, v17, 2, v16
	ds_read_b32 v20, v19
	s_waitcnt lgkmcnt(0)
	v_cmpx_ne_u32_e64 v20, v9
	s_cbranch_execz .LBB4_22
; %bb.24:                               ;   in Loop: Header=BB4_23 Depth=2
	ds_cmpst_rtn_b32 v19, v19, v11, v9
	s_mov_b32 s28, -1
	s_mov_b32 s29, 0
	s_mov_b32 s27, exec_lo
	s_waitcnt lgkmcnt(0)
	v_cmpx_ne_u32_e32 -1, v19
	s_cbranch_execz .LBB4_21
; %bb.25:                               ;   in Loop: Header=BB4_23 Depth=2
	v_add_nc_u32_e32 v17, 1, v18
	s_mov_b32 s30, -1
	s_mov_b32 s29, -1
	s_mov_b32 s28, exec_lo
	v_and_b32_e32 v17, 0xff, v17
	v_lshl_add_u32 v19, v17, 2, v16
	ds_read_b32 v20, v19
	s_waitcnt lgkmcnt(0)
	v_cmpx_ne_u32_e64 v20, v9
	s_cbranch_execz .LBB4_20
; %bb.26:                               ;   in Loop: Header=BB4_23 Depth=2
	ds_cmpst_rtn_b32 v19, v19, v11, v9
	s_mov_b32 s31, 0
	s_mov_b32 s29, exec_lo
	s_waitcnt lgkmcnt(0)
	v_cmpx_ne_u32_e32 -1, v19
	s_cbranch_execz .LBB4_19
; %bb.27:                               ;   in Loop: Header=BB4_23 Depth=2
	v_add_nc_u32_e32 v17, 2, v18
	s_mov_b32 s33, -1
	s_mov_b32 s31, -1
	s_mov_b32 s30, exec_lo
	v_and_b32_e32 v17, 0xff, v17
	v_lshl_add_u32 v19, v17, 2, v16
	ds_read_b32 v20, v19
	s_waitcnt lgkmcnt(0)
	v_cmpx_ne_u32_e64 v20, v9
	s_cbranch_execz .LBB4_18
; %bb.28:                               ;   in Loop: Header=BB4_23 Depth=2
	ds_cmpst_rtn_b32 v19, v19, v11, v9
	s_mov_b32 s34, 0
	s_mov_b32 s31, exec_lo
	s_waitcnt lgkmcnt(0)
	v_cmpx_ne_u32_e32 -1, v19
	s_cbranch_execz .LBB4_17
; %bb.29:                               ;   in Loop: Header=BB4_23 Depth=2
	v_add_nc_u32_e32 v17, 3, v18
	s_mov_b32 s35, -1
	s_mov_b32 s34, -1
	v_and_b32_e32 v17, 0xff, v17
	v_lshl_add_u32 v19, v17, 2, v16
	ds_read_b32 v18, v19
	s_waitcnt lgkmcnt(0)
	v_cmp_ne_u32_e32 vcc_lo, v18, v9
                                        ; implicit-def: $vgpr18
	s_and_saveexec_b32 s33, vcc_lo
	s_cbranch_execz .LBB4_16
; %bb.30:                               ;   in Loop: Header=BB4_23 Depth=2
	ds_cmpst_rtn_b32 v18, v19, v11, v9
	s_mov_b32 s34, 0
	s_waitcnt lgkmcnt(0)
	v_cmp_ne_u32_e32 vcc_lo, -1, v18
                                        ; implicit-def: $vgpr18
	s_and_saveexec_b32 s36, vcc_lo
	s_cbranch_execz .LBB4_15
; %bb.31:                               ;   in Loop: Header=BB4_23 Depth=2
	v_add_nc_u32_e32 v12, -4, v12
	v_add_nc_u32_e32 v18, 1, v17
	s_mov_b32 s34, exec_lo
	v_cmp_eq_u32_e32 vcc_lo, 0, v12
	s_orn2_b32 s35, vcc_lo, exec_lo
	s_branch .LBB4_15
.LBB4_32:                               ;   in Loop: Header=BB4_14 Depth=1
	s_or_b32 exec_lo, exec_lo, s6
	s_xor_b32 s6, s7, -1
	s_and_saveexec_b32 s7, s6
	s_xor_b32 s6, exec_lo, s7
	s_cbranch_execz .LBB4_13
; %bb.33:                               ;   in Loop: Header=BB4_14 Depth=1
	v_lshl_add_u32 v9, v17, 2, v0
	ds_write_b32 v9, v8
	s_branch .LBB4_13
.LBB4_34:
	s_or_b32 exec_lo, exec_lo, s0
	s_mov_b32 s0, exec_lo
	s_waitcnt vmcnt(0) lgkmcnt(0)
	buffer_gl0_inv
	v_cmpx_lt_i32_e64 v7, v6
	s_cbranch_execz .LBB4_64
; %bb.35:
	v_add_nc_u32_e32 v17, 1, v13
	s_mov_b32 s1, 0
	s_branch .LBB4_38
.LBB4_36:                               ;   in Loop: Header=BB4_38 Depth=1
	s_or_b32 exec_lo, exec_lo, s7
	v_add_nc_u32_e32 v7, 1, v7
	v_cmp_ge_i32_e32 vcc_lo, v7, v6
	s_orn2_b32 s7, vcc_lo, exec_lo
.LBB4_37:                               ;   in Loop: Header=BB4_38 Depth=1
	s_or_b32 exec_lo, exec_lo, s6
	s_and_b32 s6, exec_lo, s7
	s_or_b32 s1, s6, s1
	s_andn2_b32 exec_lo, exec_lo, s1
	s_cbranch_execz .LBB4_64
.LBB4_38:                               ; =>This Loop Header: Depth=1
                                        ;     Child Loop BB4_39 Depth 2
                                        ;     Child Loop BB4_44 Depth 2
                                        ;       Child Loop BB4_53 Depth 3
	v_ashrrev_i32_e32 v8, 31, v7
	s_mov_b32 s6, 0
	v_lshlrev_b64 v[9:10], 2, v[7:8]
	v_add_co_u32 v11, vcc_lo, s10, v9
	v_add_co_ci_u32_e64 v12, null, s11, v10, vcc_lo
	v_add_co_u32 v9, vcc_lo, s12, v9
	v_add_co_ci_u32_e64 v10, null, s13, v10, vcc_lo
	global_load_dword v8, v[11:12], off
	s_waitcnt vmcnt(0)
	v_subrev_nc_u32_e32 v11, s2, v8
	v_ashrrev_i32_e32 v12, 31, v11
	v_lshlrev_b64 v[11:12], 2, v[11:12]
	v_add_co_u32 v20, vcc_lo, s8, v11
	v_add_co_ci_u32_e64 v21, null, s9, v12, vcc_lo
	v_add_co_u32 v22, vcc_lo, s14, v11
	v_add_co_ci_u32_e64 v23, null, s15, v12, vcc_lo
	global_load_dword v19, v[9:10], off
	global_load_dword v8, v[20:21], off offset:4
	global_load_dword v20, v[22:23], off
	v_add_co_u32 v11, vcc_lo, s16, v11
	v_add_co_ci_u32_e64 v12, null, s17, v12, vcc_lo
.LBB4_39:                               ;   Parent Loop BB4_38 Depth=1
                                        ; =>  This Inner Loop Header: Depth=2
	global_load_dword v18, v[11:12], off glc dlc
	s_waitcnt vmcnt(0)
	v_cmp_ne_u32_e32 vcc_lo, 0, v18
	s_or_b32 s6, vcc_lo, s6
	s_andn2_b32 exec_lo, exec_lo, s6
	s_cbranch_execnz .LBB4_39
; %bb.40:                               ;   in Loop: Header=BB4_38 Depth=1
	s_or_b32 exec_lo, exec_lo, s6
	v_subrev_nc_u32_e32 v18, s2, v8
	v_cmp_eq_u32_e32 vcc_lo, -1, v20
	buffer_gl1_inv
	buffer_gl0_inv
	s_mov_b32 s7, -1
	s_mov_b32 s6, exec_lo
	v_add_nc_u32_e32 v8, -1, v18
	v_cndmask_b32_e32 v11, v20, v8, vcc_lo
	v_ashrrev_i32_e32 v12, 31, v11
	v_lshlrev_b64 v[20:21], 2, v[11:12]
	v_add_co_u32 v20, vcc_lo, s12, v20
	v_add_co_ci_u32_e64 v21, null, s13, v21, vcc_lo
	global_load_dword v12, v[20:21], off
	s_waitcnt vmcnt(0)
	v_cmpx_neq_f32_e32 0, v12
	s_cbranch_execz .LBB4_37
; %bb.41:                               ;   in Loop: Header=BB4_38 Depth=1
	v_div_scale_f32 v8, null, v12, v12, v19
	s_mov_b32 s7, exec_lo
	v_rcp_f32_e32 v20, v8
	v_fma_f32 v21, -v8, v20, 1.0
	v_fmac_f32_e32 v20, v21, v20
	v_div_scale_f32 v21, vcc_lo, v19, v12, v19
	v_mul_f32_e32 v22, v21, v20
	v_fma_f32 v23, -v8, v22, v21
	v_fmac_f32_e32 v22, v23, v20
	v_fma_f32 v8, -v8, v22, v21
	v_div_fmas_f32 v20, v8, v20, v22
	v_add_nc_u32_e32 v8, v17, v11
	v_div_fixup_f32 v11, v20, v12, v19
	global_store_dword v[9:10], v11, off
	v_cmpx_lt_i32_e64 v8, v18
	s_cbranch_execz .LBB4_36
; %bb.42:                               ;   in Loop: Header=BB4_38 Depth=1
	s_mov_b32 s18, 0
	s_branch .LBB4_44
.LBB4_43:                               ;   in Loop: Header=BB4_44 Depth=2
	s_or_b32 exec_lo, exec_lo, s19
	v_add_nc_u32_e32 v8, 32, v8
	v_cmp_ge_i32_e32 vcc_lo, v8, v18
	s_or_b32 s18, vcc_lo, s18
	s_andn2_b32 exec_lo, exec_lo, s18
	s_cbranch_execz .LBB4_36
.LBB4_44:                               ;   Parent Loop BB4_38 Depth=1
                                        ; =>  This Loop Header: Depth=2
                                        ;       Child Loop BB4_53 Depth 3
	v_ashrrev_i32_e32 v9, 31, v8
	s_mov_b32 s19, 0
                                        ; implicit-def: $sgpr26
                                        ; implicit-def: $sgpr27
                                        ; implicit-def: $sgpr28
	v_lshlrev_b64 v[9:10], 2, v[8:9]
	v_add_co_u32 v19, vcc_lo, s10, v9
	v_add_co_ci_u32_e64 v20, null, s11, v10, vcc_lo
	global_load_dword v12, v[19:20], off
	v_mov_b32_e32 v19, 0x100
	s_waitcnt vmcnt(0)
	v_mul_lo_u32 v21, 0x67, v12
	s_branch .LBB4_53
.LBB4_45:                               ;   in Loop: Header=BB4_53 Depth=3
	s_or_b32 exec_lo, exec_lo, s39
	s_orn2_b32 s37, s37, exec_lo
	s_orn2_b32 s38, s38, exec_lo
.LBB4_46:                               ;   in Loop: Header=BB4_53 Depth=3
	s_or_b32 exec_lo, exec_lo, s36
	s_and_b32 s37, s37, exec_lo
	s_orn2_b32 s36, s38, exec_lo
.LBB4_47:                               ;   in Loop: Header=BB4_53 Depth=3
	s_or_b32 exec_lo, exec_lo, s35
	s_orn2_b32 s35, s37, exec_lo
	s_orn2_b32 s36, s36, exec_lo
.LBB4_48:                               ;   in Loop: Header=BB4_53 Depth=3
	s_or_b32 exec_lo, exec_lo, s34
	s_and_b32 s35, s35, exec_lo
	s_orn2_b32 s34, s36, exec_lo
.LBB4_49:                               ;   in Loop: Header=BB4_53 Depth=3
	s_or_b32 exec_lo, exec_lo, s33
	s_orn2_b32 s33, s35, exec_lo
	s_orn2_b32 s34, s34, exec_lo
.LBB4_50:                               ;   in Loop: Header=BB4_53 Depth=3
	s_or_b32 exec_lo, exec_lo, s31
	s_and_b32 s33, s33, exec_lo
	s_orn2_b32 s31, s34, exec_lo
.LBB4_51:                               ;   in Loop: Header=BB4_53 Depth=3
	s_or_b32 exec_lo, exec_lo, s30
	s_andn2_b32 s28, s28, exec_lo
	s_and_b32 s30, s33, exec_lo
	s_andn2_b32 s27, s27, exec_lo
	s_and_b32 s31, s31, exec_lo
	s_or_b32 s28, s28, s30
	s_or_b32 s27, s27, s31
.LBB4_52:                               ;   in Loop: Header=BB4_53 Depth=3
	s_or_b32 exec_lo, exec_lo, s29
	s_and_b32 s29, exec_lo, s27
	s_or_b32 s19, s29, s19
	s_andn2_b32 s26, s26, exec_lo
	s_and_b32 s29, s28, exec_lo
	s_or_b32 s26, s26, s29
	s_andn2_b32 exec_lo, exec_lo, s19
	s_cbranch_execz .LBB4_62
.LBB4_53:                               ;   Parent Loop BB4_38 Depth=1
                                        ;     Parent Loop BB4_44 Depth=2
                                        ; =>    This Inner Loop Header: Depth=3
	v_and_b32_e32 v20, 0xff, v21
	s_or_b32 s28, s28, exec_lo
	s_or_b32 s27, s27, exec_lo
	s_mov_b32 s29, exec_lo
	v_lshl_add_u32 v22, v20, 2, v16
	ds_read_b32 v22, v22
	s_waitcnt lgkmcnt(0)
	v_cmpx_ne_u32_e32 -1, v22
	s_cbranch_execz .LBB4_52
; %bb.54:                               ;   in Loop: Header=BB4_53 Depth=3
	s_mov_b32 s31, -1
	s_mov_b32 s33, 0
	s_mov_b32 s30, exec_lo
	v_cmpx_ne_u32_e64 v22, v12
	s_cbranch_execz .LBB4_51
; %bb.55:                               ;   in Loop: Header=BB4_53 Depth=3
	v_add_nc_u32_e32 v20, 1, v21
	s_mov_b32 s34, -1
	s_mov_b32 s33, -1
	s_mov_b32 s31, exec_lo
	v_and_b32_e32 v20, 0xff, v20
	v_lshl_add_u32 v22, v20, 2, v16
	ds_read_b32 v22, v22
	s_waitcnt lgkmcnt(0)
	v_cmpx_ne_u32_e32 -1, v22
	s_cbranch_execz .LBB4_50
; %bb.56:                               ;   in Loop: Header=BB4_53 Depth=3
	s_mov_b32 s35, 0
	s_mov_b32 s33, exec_lo
	v_cmpx_ne_u32_e64 v22, v12
	s_cbranch_execz .LBB4_49
; %bb.57:                               ;   in Loop: Header=BB4_53 Depth=3
	v_add_nc_u32_e32 v20, 2, v21
	s_mov_b32 s36, -1
	s_mov_b32 s35, -1
	s_mov_b32 s34, exec_lo
	v_and_b32_e32 v20, 0xff, v20
	v_lshl_add_u32 v22, v20, 2, v16
	ds_read_b32 v22, v22
	s_waitcnt lgkmcnt(0)
	v_cmpx_ne_u32_e32 -1, v22
	s_cbranch_execz .LBB4_48
; %bb.58:                               ;   in Loop: Header=BB4_53 Depth=3
	s_mov_b32 s37, 0
	s_mov_b32 s35, exec_lo
	v_cmpx_ne_u32_e64 v22, v12
	s_cbranch_execz .LBB4_47
; %bb.59:                               ;   in Loop: Header=BB4_53 Depth=3
	v_add_nc_u32_e32 v20, 3, v21
	s_mov_b32 s38, -1
	s_mov_b32 s37, -1
	s_mov_b32 s36, exec_lo
	v_and_b32_e32 v20, 0xff, v20
	v_lshl_add_u32 v21, v20, 2, v16
	ds_read_b32 v22, v21
                                        ; implicit-def: $vgpr21
	s_waitcnt lgkmcnt(0)
	v_cmpx_ne_u32_e32 -1, v22
	s_cbranch_execz .LBB4_46
; %bb.60:                               ;   in Loop: Header=BB4_53 Depth=3
	s_mov_b32 s37, 0
	s_mov_b32 s39, exec_lo
                                        ; implicit-def: $vgpr21
	v_cmpx_ne_u32_e64 v22, v12
	s_cbranch_execz .LBB4_45
; %bb.61:                               ;   in Loop: Header=BB4_53 Depth=3
	v_add_nc_u32_e32 v19, -4, v19
	v_add_nc_u32_e32 v21, 1, v20
	s_mov_b32 s37, exec_lo
	v_cmp_eq_u32_e32 vcc_lo, 0, v19
	s_orn2_b32 s38, vcc_lo, exec_lo
	s_branch .LBB4_45
.LBB4_62:                               ;   in Loop: Header=BB4_44 Depth=2
	s_or_b32 exec_lo, exec_lo, s19
	s_xor_b32 s19, s26, -1
	s_and_saveexec_b32 s26, s19
	s_xor_b32 s19, exec_lo, s26
	s_cbranch_execz .LBB4_43
; %bb.63:                               ;   in Loop: Header=BB4_44 Depth=2
	v_lshl_add_u32 v12, v20, 2, v0
	v_add_co_u32 v9, vcc_lo, s12, v9
	v_add_co_ci_u32_e64 v10, null, s13, v10, vcc_lo
	ds_read_b32 v19, v12
	s_waitcnt lgkmcnt(0)
	v_ashrrev_i32_e32 v20, 31, v19
	v_lshlrev_b64 v[19:20], 2, v[19:20]
	v_add_co_u32 v19, vcc_lo, s12, v19
	v_add_co_ci_u32_e64 v20, null, s13, v20, vcc_lo
	s_clause 0x1
	global_load_dword v9, v[9:10], off
	global_load_dword v10, v[19:20], off
	s_waitcnt vmcnt(0)
	v_fma_f32 v9, -v11, v9, v10
	global_store_dword v[19:20], v9, off
	s_branch .LBB4_43
.LBB4_64:
	s_or_b32 exec_lo, exec_lo, s0
	s_mov_b32 s6, -1
	s_mov_b32 s1, exec_lo
	s_waitcnt_vscnt null, 0x0
	buffer_gl0_inv
	v_cmpx_lt_i32_e32 -1, v6
	s_cbranch_execz .LBB4_80
; %bb.65:
	v_mov_b32_e32 v7, 0
	v_cmp_eq_u32_e64 s0, 0, v13
	v_lshlrev_b64 v[6:7], 2, v[6:7]
	v_add_co_u32 v8, vcc_lo, s12, v6
	v_add_co_ci_u32_e64 v9, null, s13, v7, vcc_lo
	global_load_dword v0, v[8:9], off
	s_waitcnt vmcnt(0)
	v_cmp_gt_f32_e32 vcc_lo, 0, v0
	v_cndmask_b32_e64 v6, v0, -v0, vcc_lo
	s_andn2_b32 vcc_lo, exec_lo, s3
	v_cvt_f64_f32_e32 v[6:7], v6
	s_cbranch_vccnz .LBB4_69
; %bb.66:
	v_cvt_f64_f32_e32 v[10:11], v14
	s_cmp_eq_u64 s[24:25], 8
	s_cselect_b32 vcc_lo, -1, 0
	v_cndmask_b32_e32 v4, v11, v4, vcc_lo
	v_cndmask_b32_e32 v3, v10, v3, vcc_lo
	v_cmp_ge_f64_e32 vcc_lo, v[3:4], v[6:7]
	s_and_b32 s6, s0, vcc_lo
	s_and_saveexec_b32 s3, s6
	s_cbranch_execz .LBB4_68
; %bb.67:
	global_store_dword v[8:9], v15, off
	s_waitcnt_vscnt null, 0x0
	buffer_gl1_inv
	buffer_gl0_inv
.LBB4_68:
	s_or_b32 exec_lo, exec_lo, s3
	s_mov_b32 s6, 0
.LBB4_69:
	s_andn2_b32 vcc_lo, exec_lo, s6
	s_cbranch_vccnz .LBB4_80
; %bb.70:
	s_load_dwordx2 s[4:5], s[4:5], 0x48
	v_add_nc_u32_e32 v3, s2, v5
	s_waitcnt lgkmcnt(0)
	v_cmp_ge_f64_e32 vcc_lo, s[4:5], v[6:7]
	s_and_b32 s3, s0, vcc_lo
	s_and_saveexec_b32 s2, s3
	s_cbranch_execz .LBB4_75
; %bb.71:
	s_mov_b32 s4, exec_lo
	s_brev_b32 s3, -2
.LBB4_72:                               ; =>This Inner Loop Header: Depth=1
	s_ff1_i32_b32 s5, s4
	v_readlane_b32 s6, v3, s5
	s_lshl_b32 s5, 1, s5
	s_andn2_b32 s4, s4, s5
	s_min_i32 s3, s3, s6
	s_cmp_lg_u32 s4, 0
	s_cbranch_scc1 .LBB4_72
; %bb.73:
	v_mbcnt_lo_u32_b32 v4, exec_lo, 0
	s_mov_b32 s4, exec_lo
	v_cmpx_eq_u32_e32 0, v4
	s_xor_b32 s4, exec_lo, s4
	s_cbranch_execz .LBB4_75
; %bb.74:
	v_mov_b32_e32 v4, 0
	v_mov_b32_e32 v5, s3
	global_atomic_smin v4, v5, s[22:23]
.LBB4_75:
	s_or_b32 exec_lo, exec_lo, s2
	v_cmp_eq_f32_e32 vcc_lo, 0, v0
	s_and_b32 s0, s0, vcc_lo
	s_and_b32 exec_lo, exec_lo, s0
	s_cbranch_execz .LBB4_80
; %bb.76:
	s_mov_b32 s2, exec_lo
	s_brev_b32 s0, -2
.LBB4_77:                               ; =>This Inner Loop Header: Depth=1
	s_ff1_i32_b32 s3, s2
	v_readlane_b32 s4, v3, s3
	s_lshl_b32 s3, 1, s3
	s_andn2_b32 s2, s2, s3
	s_min_i32 s0, s0, s4
	s_cmp_lg_u32 s2, 0
	s_cbranch_scc1 .LBB4_77
; %bb.78:
	v_mbcnt_lo_u32_b32 v0, exec_lo, 0
	s_mov_b32 s2, exec_lo
	v_cmpx_eq_u32_e32 0, v0
	s_xor_b32 s2, exec_lo, s2
	s_cbranch_execz .LBB4_80
; %bb.79:
	v_mov_b32_e32 v0, 0
	v_mov_b32_e32 v3, s0
	global_atomic_smin v0, v3, s[20:21]
.LBB4_80:
	s_or_b32 exec_lo, exec_lo, s1
	v_cmp_eq_u32_e32 vcc_lo, 0, v13
	s_waitcnt_vscnt null, 0x0
	buffer_gl1_inv
	buffer_gl0_inv
	s_and_b32 exec_lo, exec_lo, vcc_lo
	s_cbranch_execz .LBB4_82
; %bb.81:
	v_add_co_u32 v0, vcc_lo, s16, v1
	v_add_co_ci_u32_e64 v1, null, s17, v2, vcc_lo
	v_mov_b32_e32 v2, 1
	global_store_dword v[0:1], v2, off
.LBB4_82:
	s_endpgm
	.section	.rodata,"a",@progbits
	.p2align	6, 0x0
	.amdhsa_kernel _ZN9rocsparseL12csrilu0_hashILj256ELj32ELj8EfEEviPKiS2_PT2_S2_PiS2_S5_S5_d21rocsparse_index_base_imNS_24const_host_device_scalarIfEENS7_IdEENS7_IS3_EEb
		.amdhsa_group_segment_fixed_size 16384
		.amdhsa_private_segment_fixed_size 0
		.amdhsa_kernarg_size 124
		.amdhsa_user_sgpr_count 6
		.amdhsa_user_sgpr_private_segment_buffer 1
		.amdhsa_user_sgpr_dispatch_ptr 0
		.amdhsa_user_sgpr_queue_ptr 0
		.amdhsa_user_sgpr_kernarg_segment_ptr 1
		.amdhsa_user_sgpr_dispatch_id 0
		.amdhsa_user_sgpr_flat_scratch_init 0
		.amdhsa_user_sgpr_private_segment_size 0
		.amdhsa_wavefront_size32 1
		.amdhsa_uses_dynamic_stack 0
		.amdhsa_system_sgpr_private_segment_wavefront_offset 0
		.amdhsa_system_sgpr_workgroup_id_x 1
		.amdhsa_system_sgpr_workgroup_id_y 0
		.amdhsa_system_sgpr_workgroup_id_z 0
		.amdhsa_system_sgpr_workgroup_info 0
		.amdhsa_system_vgpr_workitem_id 0
		.amdhsa_next_free_vgpr 24
		.amdhsa_next_free_sgpr 40
		.amdhsa_reserve_vcc 1
		.amdhsa_reserve_flat_scratch 0
		.amdhsa_float_round_mode_32 0
		.amdhsa_float_round_mode_16_64 0
		.amdhsa_float_denorm_mode_32 3
		.amdhsa_float_denorm_mode_16_64 3
		.amdhsa_dx10_clamp 1
		.amdhsa_ieee_mode 1
		.amdhsa_fp16_overflow 0
		.amdhsa_workgroup_processor_mode 1
		.amdhsa_memory_ordered 1
		.amdhsa_forward_progress 1
		.amdhsa_shared_vgpr_count 0
		.amdhsa_exception_fp_ieee_invalid_op 0
		.amdhsa_exception_fp_denorm_src 0
		.amdhsa_exception_fp_ieee_div_zero 0
		.amdhsa_exception_fp_ieee_overflow 0
		.amdhsa_exception_fp_ieee_underflow 0
		.amdhsa_exception_fp_ieee_inexact 0
		.amdhsa_exception_int_div_zero 0
	.end_amdhsa_kernel
	.section	.text._ZN9rocsparseL12csrilu0_hashILj256ELj32ELj8EfEEviPKiS2_PT2_S2_PiS2_S5_S5_d21rocsparse_index_base_imNS_24const_host_device_scalarIfEENS7_IdEENS7_IS3_EEb,"axG",@progbits,_ZN9rocsparseL12csrilu0_hashILj256ELj32ELj8EfEEviPKiS2_PT2_S2_PiS2_S5_S5_d21rocsparse_index_base_imNS_24const_host_device_scalarIfEENS7_IdEENS7_IS3_EEb,comdat
.Lfunc_end4:
	.size	_ZN9rocsparseL12csrilu0_hashILj256ELj32ELj8EfEEviPKiS2_PT2_S2_PiS2_S5_S5_d21rocsparse_index_base_imNS_24const_host_device_scalarIfEENS7_IdEENS7_IS3_EEb, .Lfunc_end4-_ZN9rocsparseL12csrilu0_hashILj256ELj32ELj8EfEEviPKiS2_PT2_S2_PiS2_S5_S5_d21rocsparse_index_base_imNS_24const_host_device_scalarIfEENS7_IdEENS7_IS3_EEb
                                        ; -- End function
	.set _ZN9rocsparseL12csrilu0_hashILj256ELj32ELj8EfEEviPKiS2_PT2_S2_PiS2_S5_S5_d21rocsparse_index_base_imNS_24const_host_device_scalarIfEENS7_IdEENS7_IS3_EEb.num_vgpr, 24
	.set _ZN9rocsparseL12csrilu0_hashILj256ELj32ELj8EfEEviPKiS2_PT2_S2_PiS2_S5_S5_d21rocsparse_index_base_imNS_24const_host_device_scalarIfEENS7_IdEENS7_IS3_EEb.num_agpr, 0
	.set _ZN9rocsparseL12csrilu0_hashILj256ELj32ELj8EfEEviPKiS2_PT2_S2_PiS2_S5_S5_d21rocsparse_index_base_imNS_24const_host_device_scalarIfEENS7_IdEENS7_IS3_EEb.numbered_sgpr, 40
	.set _ZN9rocsparseL12csrilu0_hashILj256ELj32ELj8EfEEviPKiS2_PT2_S2_PiS2_S5_S5_d21rocsparse_index_base_imNS_24const_host_device_scalarIfEENS7_IdEENS7_IS3_EEb.num_named_barrier, 0
	.set _ZN9rocsparseL12csrilu0_hashILj256ELj32ELj8EfEEviPKiS2_PT2_S2_PiS2_S5_S5_d21rocsparse_index_base_imNS_24const_host_device_scalarIfEENS7_IdEENS7_IS3_EEb.private_seg_size, 0
	.set _ZN9rocsparseL12csrilu0_hashILj256ELj32ELj8EfEEviPKiS2_PT2_S2_PiS2_S5_S5_d21rocsparse_index_base_imNS_24const_host_device_scalarIfEENS7_IdEENS7_IS3_EEb.uses_vcc, 1
	.set _ZN9rocsparseL12csrilu0_hashILj256ELj32ELj8EfEEviPKiS2_PT2_S2_PiS2_S5_S5_d21rocsparse_index_base_imNS_24const_host_device_scalarIfEENS7_IdEENS7_IS3_EEb.uses_flat_scratch, 0
	.set _ZN9rocsparseL12csrilu0_hashILj256ELj32ELj8EfEEviPKiS2_PT2_S2_PiS2_S5_S5_d21rocsparse_index_base_imNS_24const_host_device_scalarIfEENS7_IdEENS7_IS3_EEb.has_dyn_sized_stack, 0
	.set _ZN9rocsparseL12csrilu0_hashILj256ELj32ELj8EfEEviPKiS2_PT2_S2_PiS2_S5_S5_d21rocsparse_index_base_imNS_24const_host_device_scalarIfEENS7_IdEENS7_IS3_EEb.has_recursion, 0
	.set _ZN9rocsparseL12csrilu0_hashILj256ELj32ELj8EfEEviPKiS2_PT2_S2_PiS2_S5_S5_d21rocsparse_index_base_imNS_24const_host_device_scalarIfEENS7_IdEENS7_IS3_EEb.has_indirect_call, 0
	.section	.AMDGPU.csdata,"",@progbits
; Kernel info:
; codeLenInByte = 2684
; TotalNumSgprs: 42
; NumVgprs: 24
; ScratchSize: 0
; MemoryBound: 0
; FloatMode: 240
; IeeeMode: 1
; LDSByteSize: 16384 bytes/workgroup (compile time only)
; SGPRBlocks: 0
; VGPRBlocks: 2
; NumSGPRsForWavesPerEU: 42
; NumVGPRsForWavesPerEU: 24
; Occupancy: 16
; WaveLimiterHint : 1
; COMPUTE_PGM_RSRC2:SCRATCH_EN: 0
; COMPUTE_PGM_RSRC2:USER_SGPR: 6
; COMPUTE_PGM_RSRC2:TRAP_HANDLER: 0
; COMPUTE_PGM_RSRC2:TGID_X_EN: 1
; COMPUTE_PGM_RSRC2:TGID_Y_EN: 0
; COMPUTE_PGM_RSRC2:TGID_Z_EN: 0
; COMPUTE_PGM_RSRC2:TIDIG_COMP_CNT: 0
	.section	.text._ZN9rocsparseL12csrilu0_hashILj256ELj32ELj16EfEEviPKiS2_PT2_S2_PiS2_S5_S5_d21rocsparse_index_base_imNS_24const_host_device_scalarIfEENS7_IdEENS7_IS3_EEb,"axG",@progbits,_ZN9rocsparseL12csrilu0_hashILj256ELj32ELj16EfEEviPKiS2_PT2_S2_PiS2_S5_S5_d21rocsparse_index_base_imNS_24const_host_device_scalarIfEENS7_IdEENS7_IS3_EEb,comdat
	.globl	_ZN9rocsparseL12csrilu0_hashILj256ELj32ELj16EfEEviPKiS2_PT2_S2_PiS2_S5_S5_d21rocsparse_index_base_imNS_24const_host_device_scalarIfEENS7_IdEENS7_IS3_EEb ; -- Begin function _ZN9rocsparseL12csrilu0_hashILj256ELj32ELj16EfEEviPKiS2_PT2_S2_PiS2_S5_S5_d21rocsparse_index_base_imNS_24const_host_device_scalarIfEENS7_IdEENS7_IS3_EEb
	.p2align	8
	.type	_ZN9rocsparseL12csrilu0_hashILj256ELj32ELj16EfEEviPKiS2_PT2_S2_PiS2_S5_S5_d21rocsparse_index_base_imNS_24const_host_device_scalarIfEENS7_IdEENS7_IS3_EEb,@function
_ZN9rocsparseL12csrilu0_hashILj256ELj32ELj16EfEEviPKiS2_PT2_S2_PiS2_S5_S5_d21rocsparse_index_base_imNS_24const_host_device_scalarIfEENS7_IdEENS7_IS3_EEb: ; @_ZN9rocsparseL12csrilu0_hashILj256ELj32ELj16EfEEviPKiS2_PT2_S2_PiS2_S5_S5_d21rocsparse_index_base_imNS_24const_host_device_scalarIfEENS7_IdEENS7_IS3_EEb
; %bb.0:
	s_clause 0x2
	s_load_dword s0, s[4:5], 0x78
	s_load_dwordx2 s[2:3], s[4:5], 0x50
	s_load_dwordx8 s[24:31], s[4:5], 0x58
	s_waitcnt lgkmcnt(0)
	s_bitcmp1_b32 s0, 0
	s_cselect_b32 s0, -1, 0
	s_cmp_eq_u32 s3, 0
	s_cselect_b32 s7, -1, 0
	s_cmp_lg_u32 s3, 0
	s_cselect_b32 s3, -1, 0
	s_or_b32 s9, s7, s0
	s_xor_b32 s8, s9, -1
	s_and_b32 s0, s7, exec_lo
	s_cselect_b32 s1, 0, s29
	s_cselect_b32 s0, 0, s28
	s_and_b32 vcc_lo, exec_lo, s9
	s_cbranch_vccnz .LBB5_2
; %bb.1:
	s_load_dword s0, s[26:27], 0x0
	s_waitcnt lgkmcnt(0)
	v_mov_b32_e32 v14, s0
	s_mov_b64 s[0:1], s[28:29]
	s_branch .LBB5_3
.LBB5_2:
	v_cndmask_b32_e64 v14, s26, 0, s7
.LBB5_3:
	v_mov_b32_e32 v4, s1
	v_cndmask_b32_e64 v1, 0, 1, s8
	v_mov_b32_e32 v3, s0
	s_andn2_b32 vcc_lo, exec_lo, s8
	s_cbranch_vccnz .LBB5_5
; %bb.4:
	v_mov_b32_e32 v2, s28
	v_mov_b32_e32 v3, s29
	flat_load_dwordx2 v[3:4], v[2:3]
.LBB5_5:
	v_cmp_ne_u32_e32 vcc_lo, 1, v1
	s_mov_b32 s0, 0
	s_cbranch_vccnz .LBB5_7
; %bb.6:
	s_load_dword s1, s[30:31], 0x0
	s_waitcnt lgkmcnt(0)
	v_mov_b32_e32 v15, s1
	s_branch .LBB5_8
.LBB5_7:
	v_cndmask_b32_e64 v15, s30, 0, s7
.LBB5_8:
	v_lshrrev_b32_e32 v1, 5, v0
	v_and_b32_e32 v13, 31, v0
	v_lshlrev_b32_e32 v5, 11, v1
	v_lshlrev_b32_e32 v6, 2, v13
	v_or_b32_e32 v2, 0xffffffe0, v13
	v_or3_b32 v5, v5, v6, 0x4000
	v_mov_b32_e32 v6, -1
.LBB5_9:                                ; =>This Inner Loop Header: Depth=1
	v_add_nc_u32_e32 v2, 32, v2
	ds_write_b32 v5, v6
	v_add_nc_u32_e32 v5, 0x80, v5
	v_cmp_lt_u32_e32 vcc_lo, 0x1df, v2
	s_or_b32 s0, vcc_lo, s0
	s_andn2_b32 exec_lo, exec_lo, s0
	s_cbranch_execnz .LBB5_9
; %bb.10:
	s_or_b32 exec_lo, exec_lo, s0
	s_load_dword s0, s[4:5], 0x0
	s_lshl_b32 s1, s6, 3
	s_waitcnt vmcnt(0) lgkmcnt(0)
	buffer_gl0_inv
	v_and_or_b32 v1, 0x7fffff8, s1, v1
	v_cmp_gt_i32_e32 vcc_lo, s0, v1
	s_and_saveexec_b32 s0, vcc_lo
	s_cbranch_execz .LBB5_82
; %bb.11:
	s_load_dwordx16 s[8:23], s[4:5], 0x8
	v_lshlrev_b32_e32 v1, 2, v1
	v_lshlrev_b32_e32 v0, 6, v0
	s_mov_b32 s0, exec_lo
	v_and_b32_e32 v0, 0x3800, v0
	v_or_b32_e32 v16, 0x4000, v0
	s_waitcnt lgkmcnt(0)
	global_load_dword v5, v1, s[18:19]
	s_waitcnt vmcnt(0)
	v_ashrrev_i32_e32 v6, 31, v5
	v_lshlrev_b64 v[1:2], 2, v[5:6]
	v_add_co_u32 v6, vcc_lo, s8, v1
	v_add_co_ci_u32_e64 v7, null, s9, v2, vcc_lo
	v_add_co_u32 v9, vcc_lo, s14, v1
	v_add_co_ci_u32_e64 v10, null, s15, v2, vcc_lo
	global_load_dwordx2 v[7:8], v[6:7], off
	global_load_dword v6, v[9:10], off
	s_waitcnt vmcnt(1)
	v_subrev_nc_u32_e32 v7, s2, v7
	v_subrev_nc_u32_e32 v10, s2, v8
	v_add_nc_u32_e32 v8, v7, v13
	v_cmpx_lt_i32_e64 v8, v10
	s_cbranch_execz .LBB5_34
; %bb.12:
	v_mov_b32_e32 v11, -1
	s_mov_b32 s1, 0
	s_branch .LBB5_14
.LBB5_13:                               ;   in Loop: Header=BB5_14 Depth=1
	s_or_b32 exec_lo, exec_lo, s6
	v_add_nc_u32_e32 v8, 32, v8
	v_cmp_ge_i32_e32 vcc_lo, v8, v10
	s_or_b32 s1, vcc_lo, s1
	s_andn2_b32 exec_lo, exec_lo, s1
	s_cbranch_execz .LBB5_34
.LBB5_14:                               ; =>This Loop Header: Depth=1
                                        ;     Child Loop BB5_23 Depth 2
	v_ashrrev_i32_e32 v9, 31, v8
	v_mov_b32_e32 v12, 0x200
	s_mov_b32 s6, 0
                                        ; implicit-def: $sgpr7
                                        ; implicit-def: $sgpr18
                                        ; implicit-def: $sgpr19
	v_lshlrev_b64 v[17:18], 2, v[8:9]
	v_add_co_u32 v17, vcc_lo, s10, v17
	v_add_co_ci_u32_e64 v18, null, s11, v18, vcc_lo
	global_load_dword v9, v[17:18], off
	s_waitcnt vmcnt(0)
	v_mul_lo_u32 v18, 0x67, v9
	s_branch .LBB5_23
.LBB5_15:                               ;   in Loop: Header=BB5_23 Depth=2
	s_or_b32 exec_lo, exec_lo, s36
	s_orn2_b32 s34, s34, exec_lo
	s_orn2_b32 s35, s35, exec_lo
.LBB5_16:                               ;   in Loop: Header=BB5_23 Depth=2
	s_or_b32 exec_lo, exec_lo, s33
	s_and_b32 s34, s34, exec_lo
	s_orn2_b32 s33, s35, exec_lo
.LBB5_17:                               ;   in Loop: Header=BB5_23 Depth=2
	s_or_b32 exec_lo, exec_lo, s31
	s_orn2_b32 s31, s34, exec_lo
	s_orn2_b32 s33, s33, exec_lo
.LBB5_18:                               ;   in Loop: Header=BB5_23 Depth=2
	s_or_b32 exec_lo, exec_lo, s30
	s_and_b32 s31, s31, exec_lo
	s_orn2_b32 s30, s33, exec_lo
.LBB5_19:                               ;   in Loop: Header=BB5_23 Depth=2
	s_or_b32 exec_lo, exec_lo, s29
	s_orn2_b32 s29, s31, exec_lo
	s_orn2_b32 s30, s30, exec_lo
.LBB5_20:                               ;   in Loop: Header=BB5_23 Depth=2
	s_or_b32 exec_lo, exec_lo, s28
	s_and_b32 s29, s29, exec_lo
	s_orn2_b32 s28, s30, exec_lo
.LBB5_21:                               ;   in Loop: Header=BB5_23 Depth=2
	s_or_b32 exec_lo, exec_lo, s27
	s_andn2_b32 s19, s19, exec_lo
	s_and_b32 s27, s29, exec_lo
	s_andn2_b32 s18, s18, exec_lo
	s_and_b32 s28, s28, exec_lo
	s_or_b32 s19, s19, s27
	s_or_b32 s18, s18, s28
.LBB5_22:                               ;   in Loop: Header=BB5_23 Depth=2
	s_or_b32 exec_lo, exec_lo, s26
	s_and_b32 s26, exec_lo, s18
	s_or_b32 s6, s26, s6
	s_andn2_b32 s7, s7, exec_lo
	s_and_b32 s26, s19, exec_lo
	s_or_b32 s7, s7, s26
	s_andn2_b32 exec_lo, exec_lo, s6
	s_cbranch_execz .LBB5_32
.LBB5_23:                               ;   Parent Loop BB5_14 Depth=1
                                        ; =>  This Inner Loop Header: Depth=2
	v_and_b32_e32 v17, 0x1ff, v18
	s_or_b32 s19, s19, exec_lo
	s_or_b32 s18, s18, exec_lo
	s_mov_b32 s26, exec_lo
	v_lshl_add_u32 v19, v17, 2, v16
	ds_read_b32 v20, v19
	s_waitcnt lgkmcnt(0)
	v_cmpx_ne_u32_e64 v20, v9
	s_cbranch_execz .LBB5_22
; %bb.24:                               ;   in Loop: Header=BB5_23 Depth=2
	ds_cmpst_rtn_b32 v19, v19, v11, v9
	s_mov_b32 s28, -1
	s_mov_b32 s29, 0
	s_mov_b32 s27, exec_lo
	s_waitcnt lgkmcnt(0)
	v_cmpx_ne_u32_e32 -1, v19
	s_cbranch_execz .LBB5_21
; %bb.25:                               ;   in Loop: Header=BB5_23 Depth=2
	v_add_nc_u32_e32 v17, 1, v18
	s_mov_b32 s30, -1
	s_mov_b32 s29, -1
	s_mov_b32 s28, exec_lo
	v_and_b32_e32 v17, 0x1ff, v17
	v_lshl_add_u32 v19, v17, 2, v16
	ds_read_b32 v20, v19
	s_waitcnt lgkmcnt(0)
	v_cmpx_ne_u32_e64 v20, v9
	s_cbranch_execz .LBB5_20
; %bb.26:                               ;   in Loop: Header=BB5_23 Depth=2
	ds_cmpst_rtn_b32 v19, v19, v11, v9
	s_mov_b32 s31, 0
	s_mov_b32 s29, exec_lo
	s_waitcnt lgkmcnt(0)
	v_cmpx_ne_u32_e32 -1, v19
	s_cbranch_execz .LBB5_19
; %bb.27:                               ;   in Loop: Header=BB5_23 Depth=2
	v_add_nc_u32_e32 v17, 2, v18
	s_mov_b32 s33, -1
	s_mov_b32 s31, -1
	s_mov_b32 s30, exec_lo
	v_and_b32_e32 v17, 0x1ff, v17
	v_lshl_add_u32 v19, v17, 2, v16
	ds_read_b32 v20, v19
	s_waitcnt lgkmcnt(0)
	v_cmpx_ne_u32_e64 v20, v9
	s_cbranch_execz .LBB5_18
; %bb.28:                               ;   in Loop: Header=BB5_23 Depth=2
	ds_cmpst_rtn_b32 v19, v19, v11, v9
	s_mov_b32 s34, 0
	s_mov_b32 s31, exec_lo
	s_waitcnt lgkmcnt(0)
	v_cmpx_ne_u32_e32 -1, v19
	s_cbranch_execz .LBB5_17
; %bb.29:                               ;   in Loop: Header=BB5_23 Depth=2
	v_add_nc_u32_e32 v17, 3, v18
	s_mov_b32 s35, -1
	s_mov_b32 s34, -1
	v_and_b32_e32 v17, 0x1ff, v17
	v_lshl_add_u32 v19, v17, 2, v16
	ds_read_b32 v18, v19
	s_waitcnt lgkmcnt(0)
	v_cmp_ne_u32_e32 vcc_lo, v18, v9
                                        ; implicit-def: $vgpr18
	s_and_saveexec_b32 s33, vcc_lo
	s_cbranch_execz .LBB5_16
; %bb.30:                               ;   in Loop: Header=BB5_23 Depth=2
	ds_cmpst_rtn_b32 v18, v19, v11, v9
	s_mov_b32 s34, 0
	s_waitcnt lgkmcnt(0)
	v_cmp_ne_u32_e32 vcc_lo, -1, v18
                                        ; implicit-def: $vgpr18
	s_and_saveexec_b32 s36, vcc_lo
	s_cbranch_execz .LBB5_15
; %bb.31:                               ;   in Loop: Header=BB5_23 Depth=2
	v_add_nc_u32_e32 v12, -4, v12
	v_add_nc_u32_e32 v18, 1, v17
	s_mov_b32 s34, exec_lo
	v_cmp_eq_u32_e32 vcc_lo, 0, v12
	s_orn2_b32 s35, vcc_lo, exec_lo
	s_branch .LBB5_15
.LBB5_32:                               ;   in Loop: Header=BB5_14 Depth=1
	s_or_b32 exec_lo, exec_lo, s6
	s_xor_b32 s6, s7, -1
	s_and_saveexec_b32 s7, s6
	s_xor_b32 s6, exec_lo, s7
	s_cbranch_execz .LBB5_13
; %bb.33:                               ;   in Loop: Header=BB5_14 Depth=1
	v_lshl_add_u32 v9, v17, 2, v0
	ds_write_b32 v9, v8
	s_branch .LBB5_13
.LBB5_34:
	s_or_b32 exec_lo, exec_lo, s0
	s_mov_b32 s0, exec_lo
	s_waitcnt vmcnt(0) lgkmcnt(0)
	buffer_gl0_inv
	v_cmpx_lt_i32_e64 v7, v6
	s_cbranch_execz .LBB5_64
; %bb.35:
	v_add_nc_u32_e32 v17, 1, v13
	s_mov_b32 s1, 0
	s_branch .LBB5_38
.LBB5_36:                               ;   in Loop: Header=BB5_38 Depth=1
	s_or_b32 exec_lo, exec_lo, s7
	v_add_nc_u32_e32 v7, 1, v7
	v_cmp_ge_i32_e32 vcc_lo, v7, v6
	s_orn2_b32 s7, vcc_lo, exec_lo
.LBB5_37:                               ;   in Loop: Header=BB5_38 Depth=1
	s_or_b32 exec_lo, exec_lo, s6
	s_and_b32 s6, exec_lo, s7
	s_or_b32 s1, s6, s1
	s_andn2_b32 exec_lo, exec_lo, s1
	s_cbranch_execz .LBB5_64
.LBB5_38:                               ; =>This Loop Header: Depth=1
                                        ;     Child Loop BB5_39 Depth 2
                                        ;     Child Loop BB5_44 Depth 2
                                        ;       Child Loop BB5_53 Depth 3
	v_ashrrev_i32_e32 v8, 31, v7
	s_mov_b32 s6, 0
	v_lshlrev_b64 v[9:10], 2, v[7:8]
	v_add_co_u32 v11, vcc_lo, s10, v9
	v_add_co_ci_u32_e64 v12, null, s11, v10, vcc_lo
	v_add_co_u32 v9, vcc_lo, s12, v9
	v_add_co_ci_u32_e64 v10, null, s13, v10, vcc_lo
	global_load_dword v8, v[11:12], off
	s_waitcnt vmcnt(0)
	v_subrev_nc_u32_e32 v11, s2, v8
	v_ashrrev_i32_e32 v12, 31, v11
	v_lshlrev_b64 v[11:12], 2, v[11:12]
	v_add_co_u32 v20, vcc_lo, s8, v11
	v_add_co_ci_u32_e64 v21, null, s9, v12, vcc_lo
	v_add_co_u32 v22, vcc_lo, s14, v11
	v_add_co_ci_u32_e64 v23, null, s15, v12, vcc_lo
	global_load_dword v19, v[9:10], off
	global_load_dword v8, v[20:21], off offset:4
	global_load_dword v20, v[22:23], off
	v_add_co_u32 v11, vcc_lo, s16, v11
	v_add_co_ci_u32_e64 v12, null, s17, v12, vcc_lo
.LBB5_39:                               ;   Parent Loop BB5_38 Depth=1
                                        ; =>  This Inner Loop Header: Depth=2
	global_load_dword v18, v[11:12], off glc dlc
	s_waitcnt vmcnt(0)
	v_cmp_ne_u32_e32 vcc_lo, 0, v18
	s_or_b32 s6, vcc_lo, s6
	s_andn2_b32 exec_lo, exec_lo, s6
	s_cbranch_execnz .LBB5_39
; %bb.40:                               ;   in Loop: Header=BB5_38 Depth=1
	s_or_b32 exec_lo, exec_lo, s6
	v_subrev_nc_u32_e32 v18, s2, v8
	v_cmp_eq_u32_e32 vcc_lo, -1, v20
	buffer_gl1_inv
	buffer_gl0_inv
	s_mov_b32 s7, -1
	s_mov_b32 s6, exec_lo
	v_add_nc_u32_e32 v8, -1, v18
	v_cndmask_b32_e32 v11, v20, v8, vcc_lo
	v_ashrrev_i32_e32 v12, 31, v11
	v_lshlrev_b64 v[20:21], 2, v[11:12]
	v_add_co_u32 v20, vcc_lo, s12, v20
	v_add_co_ci_u32_e64 v21, null, s13, v21, vcc_lo
	global_load_dword v12, v[20:21], off
	s_waitcnt vmcnt(0)
	v_cmpx_neq_f32_e32 0, v12
	s_cbranch_execz .LBB5_37
; %bb.41:                               ;   in Loop: Header=BB5_38 Depth=1
	v_div_scale_f32 v8, null, v12, v12, v19
	s_mov_b32 s7, exec_lo
	v_rcp_f32_e32 v20, v8
	v_fma_f32 v21, -v8, v20, 1.0
	v_fmac_f32_e32 v20, v21, v20
	v_div_scale_f32 v21, vcc_lo, v19, v12, v19
	v_mul_f32_e32 v22, v21, v20
	v_fma_f32 v23, -v8, v22, v21
	v_fmac_f32_e32 v22, v23, v20
	v_fma_f32 v8, -v8, v22, v21
	v_div_fmas_f32 v20, v8, v20, v22
	v_add_nc_u32_e32 v8, v17, v11
	v_div_fixup_f32 v11, v20, v12, v19
	global_store_dword v[9:10], v11, off
	v_cmpx_lt_i32_e64 v8, v18
	s_cbranch_execz .LBB5_36
; %bb.42:                               ;   in Loop: Header=BB5_38 Depth=1
	s_mov_b32 s18, 0
	s_branch .LBB5_44
.LBB5_43:                               ;   in Loop: Header=BB5_44 Depth=2
	s_or_b32 exec_lo, exec_lo, s19
	v_add_nc_u32_e32 v8, 32, v8
	v_cmp_ge_i32_e32 vcc_lo, v8, v18
	s_or_b32 s18, vcc_lo, s18
	s_andn2_b32 exec_lo, exec_lo, s18
	s_cbranch_execz .LBB5_36
.LBB5_44:                               ;   Parent Loop BB5_38 Depth=1
                                        ; =>  This Loop Header: Depth=2
                                        ;       Child Loop BB5_53 Depth 3
	v_ashrrev_i32_e32 v9, 31, v8
	s_mov_b32 s19, 0
                                        ; implicit-def: $sgpr26
                                        ; implicit-def: $sgpr27
                                        ; implicit-def: $sgpr28
	v_lshlrev_b64 v[9:10], 2, v[8:9]
	v_add_co_u32 v19, vcc_lo, s10, v9
	v_add_co_ci_u32_e64 v20, null, s11, v10, vcc_lo
	global_load_dword v12, v[19:20], off
	v_mov_b32_e32 v19, 0x200
	s_waitcnt vmcnt(0)
	v_mul_lo_u32 v21, 0x67, v12
	s_branch .LBB5_53
.LBB5_45:                               ;   in Loop: Header=BB5_53 Depth=3
	s_or_b32 exec_lo, exec_lo, s39
	s_orn2_b32 s37, s37, exec_lo
	s_orn2_b32 s38, s38, exec_lo
.LBB5_46:                               ;   in Loop: Header=BB5_53 Depth=3
	s_or_b32 exec_lo, exec_lo, s36
	s_and_b32 s37, s37, exec_lo
	s_orn2_b32 s36, s38, exec_lo
.LBB5_47:                               ;   in Loop: Header=BB5_53 Depth=3
	s_or_b32 exec_lo, exec_lo, s35
	s_orn2_b32 s35, s37, exec_lo
	s_orn2_b32 s36, s36, exec_lo
.LBB5_48:                               ;   in Loop: Header=BB5_53 Depth=3
	s_or_b32 exec_lo, exec_lo, s34
	s_and_b32 s35, s35, exec_lo
	s_orn2_b32 s34, s36, exec_lo
.LBB5_49:                               ;   in Loop: Header=BB5_53 Depth=3
	s_or_b32 exec_lo, exec_lo, s33
	s_orn2_b32 s33, s35, exec_lo
	s_orn2_b32 s34, s34, exec_lo
.LBB5_50:                               ;   in Loop: Header=BB5_53 Depth=3
	s_or_b32 exec_lo, exec_lo, s31
	s_and_b32 s33, s33, exec_lo
	s_orn2_b32 s31, s34, exec_lo
.LBB5_51:                               ;   in Loop: Header=BB5_53 Depth=3
	s_or_b32 exec_lo, exec_lo, s30
	s_andn2_b32 s28, s28, exec_lo
	s_and_b32 s30, s33, exec_lo
	s_andn2_b32 s27, s27, exec_lo
	s_and_b32 s31, s31, exec_lo
	s_or_b32 s28, s28, s30
	s_or_b32 s27, s27, s31
.LBB5_52:                               ;   in Loop: Header=BB5_53 Depth=3
	s_or_b32 exec_lo, exec_lo, s29
	s_and_b32 s29, exec_lo, s27
	s_or_b32 s19, s29, s19
	s_andn2_b32 s26, s26, exec_lo
	s_and_b32 s29, s28, exec_lo
	s_or_b32 s26, s26, s29
	s_andn2_b32 exec_lo, exec_lo, s19
	s_cbranch_execz .LBB5_62
.LBB5_53:                               ;   Parent Loop BB5_38 Depth=1
                                        ;     Parent Loop BB5_44 Depth=2
                                        ; =>    This Inner Loop Header: Depth=3
	v_and_b32_e32 v20, 0x1ff, v21
	s_or_b32 s28, s28, exec_lo
	s_or_b32 s27, s27, exec_lo
	s_mov_b32 s29, exec_lo
	v_lshl_add_u32 v22, v20, 2, v16
	ds_read_b32 v22, v22
	s_waitcnt lgkmcnt(0)
	v_cmpx_ne_u32_e32 -1, v22
	s_cbranch_execz .LBB5_52
; %bb.54:                               ;   in Loop: Header=BB5_53 Depth=3
	s_mov_b32 s31, -1
	s_mov_b32 s33, 0
	s_mov_b32 s30, exec_lo
	v_cmpx_ne_u32_e64 v22, v12
	s_cbranch_execz .LBB5_51
; %bb.55:                               ;   in Loop: Header=BB5_53 Depth=3
	v_add_nc_u32_e32 v20, 1, v21
	s_mov_b32 s34, -1
	s_mov_b32 s33, -1
	s_mov_b32 s31, exec_lo
	v_and_b32_e32 v20, 0x1ff, v20
	v_lshl_add_u32 v22, v20, 2, v16
	ds_read_b32 v22, v22
	s_waitcnt lgkmcnt(0)
	v_cmpx_ne_u32_e32 -1, v22
	s_cbranch_execz .LBB5_50
; %bb.56:                               ;   in Loop: Header=BB5_53 Depth=3
	s_mov_b32 s35, 0
	s_mov_b32 s33, exec_lo
	v_cmpx_ne_u32_e64 v22, v12
	s_cbranch_execz .LBB5_49
; %bb.57:                               ;   in Loop: Header=BB5_53 Depth=3
	v_add_nc_u32_e32 v20, 2, v21
	s_mov_b32 s36, -1
	s_mov_b32 s35, -1
	s_mov_b32 s34, exec_lo
	v_and_b32_e32 v20, 0x1ff, v20
	v_lshl_add_u32 v22, v20, 2, v16
	ds_read_b32 v22, v22
	s_waitcnt lgkmcnt(0)
	v_cmpx_ne_u32_e32 -1, v22
	s_cbranch_execz .LBB5_48
; %bb.58:                               ;   in Loop: Header=BB5_53 Depth=3
	s_mov_b32 s37, 0
	s_mov_b32 s35, exec_lo
	v_cmpx_ne_u32_e64 v22, v12
	s_cbranch_execz .LBB5_47
; %bb.59:                               ;   in Loop: Header=BB5_53 Depth=3
	v_add_nc_u32_e32 v20, 3, v21
	s_mov_b32 s38, -1
	s_mov_b32 s37, -1
	s_mov_b32 s36, exec_lo
	v_and_b32_e32 v20, 0x1ff, v20
	v_lshl_add_u32 v21, v20, 2, v16
	ds_read_b32 v22, v21
                                        ; implicit-def: $vgpr21
	s_waitcnt lgkmcnt(0)
	v_cmpx_ne_u32_e32 -1, v22
	s_cbranch_execz .LBB5_46
; %bb.60:                               ;   in Loop: Header=BB5_53 Depth=3
	s_mov_b32 s37, 0
	s_mov_b32 s39, exec_lo
                                        ; implicit-def: $vgpr21
	v_cmpx_ne_u32_e64 v22, v12
	s_cbranch_execz .LBB5_45
; %bb.61:                               ;   in Loop: Header=BB5_53 Depth=3
	v_add_nc_u32_e32 v19, -4, v19
	v_add_nc_u32_e32 v21, 1, v20
	s_mov_b32 s37, exec_lo
	v_cmp_eq_u32_e32 vcc_lo, 0, v19
	s_orn2_b32 s38, vcc_lo, exec_lo
	s_branch .LBB5_45
.LBB5_62:                               ;   in Loop: Header=BB5_44 Depth=2
	s_or_b32 exec_lo, exec_lo, s19
	s_xor_b32 s19, s26, -1
	s_and_saveexec_b32 s26, s19
	s_xor_b32 s19, exec_lo, s26
	s_cbranch_execz .LBB5_43
; %bb.63:                               ;   in Loop: Header=BB5_44 Depth=2
	v_lshl_add_u32 v12, v20, 2, v0
	v_add_co_u32 v9, vcc_lo, s12, v9
	v_add_co_ci_u32_e64 v10, null, s13, v10, vcc_lo
	ds_read_b32 v19, v12
	s_waitcnt lgkmcnt(0)
	v_ashrrev_i32_e32 v20, 31, v19
	v_lshlrev_b64 v[19:20], 2, v[19:20]
	v_add_co_u32 v19, vcc_lo, s12, v19
	v_add_co_ci_u32_e64 v20, null, s13, v20, vcc_lo
	s_clause 0x1
	global_load_dword v9, v[9:10], off
	global_load_dword v10, v[19:20], off
	s_waitcnt vmcnt(0)
	v_fma_f32 v9, -v11, v9, v10
	global_store_dword v[19:20], v9, off
	s_branch .LBB5_43
.LBB5_64:
	s_or_b32 exec_lo, exec_lo, s0
	s_mov_b32 s6, -1
	s_mov_b32 s1, exec_lo
	s_waitcnt_vscnt null, 0x0
	buffer_gl0_inv
	v_cmpx_lt_i32_e32 -1, v6
	s_cbranch_execz .LBB5_80
; %bb.65:
	v_mov_b32_e32 v7, 0
	v_cmp_eq_u32_e64 s0, 0, v13
	v_lshlrev_b64 v[6:7], 2, v[6:7]
	v_add_co_u32 v8, vcc_lo, s12, v6
	v_add_co_ci_u32_e64 v9, null, s13, v7, vcc_lo
	global_load_dword v0, v[8:9], off
	s_waitcnt vmcnt(0)
	v_cmp_gt_f32_e32 vcc_lo, 0, v0
	v_cndmask_b32_e64 v6, v0, -v0, vcc_lo
	s_andn2_b32 vcc_lo, exec_lo, s3
	v_cvt_f64_f32_e32 v[6:7], v6
	s_cbranch_vccnz .LBB5_69
; %bb.66:
	v_cvt_f64_f32_e32 v[10:11], v14
	s_cmp_eq_u64 s[24:25], 8
	s_cselect_b32 vcc_lo, -1, 0
	v_cndmask_b32_e32 v4, v11, v4, vcc_lo
	v_cndmask_b32_e32 v3, v10, v3, vcc_lo
	v_cmp_ge_f64_e32 vcc_lo, v[3:4], v[6:7]
	s_and_b32 s6, s0, vcc_lo
	s_and_saveexec_b32 s3, s6
	s_cbranch_execz .LBB5_68
; %bb.67:
	global_store_dword v[8:9], v15, off
	s_waitcnt_vscnt null, 0x0
	buffer_gl1_inv
	buffer_gl0_inv
.LBB5_68:
	s_or_b32 exec_lo, exec_lo, s3
	s_mov_b32 s6, 0
.LBB5_69:
	s_andn2_b32 vcc_lo, exec_lo, s6
	s_cbranch_vccnz .LBB5_80
; %bb.70:
	s_load_dwordx2 s[4:5], s[4:5], 0x48
	v_add_nc_u32_e32 v3, s2, v5
	s_waitcnt lgkmcnt(0)
	v_cmp_ge_f64_e32 vcc_lo, s[4:5], v[6:7]
	s_and_b32 s3, s0, vcc_lo
	s_and_saveexec_b32 s2, s3
	s_cbranch_execz .LBB5_75
; %bb.71:
	s_mov_b32 s4, exec_lo
	s_brev_b32 s3, -2
.LBB5_72:                               ; =>This Inner Loop Header: Depth=1
	s_ff1_i32_b32 s5, s4
	v_readlane_b32 s6, v3, s5
	s_lshl_b32 s5, 1, s5
	s_andn2_b32 s4, s4, s5
	s_min_i32 s3, s3, s6
	s_cmp_lg_u32 s4, 0
	s_cbranch_scc1 .LBB5_72
; %bb.73:
	v_mbcnt_lo_u32_b32 v4, exec_lo, 0
	s_mov_b32 s4, exec_lo
	v_cmpx_eq_u32_e32 0, v4
	s_xor_b32 s4, exec_lo, s4
	s_cbranch_execz .LBB5_75
; %bb.74:
	v_mov_b32_e32 v4, 0
	v_mov_b32_e32 v5, s3
	global_atomic_smin v4, v5, s[22:23]
.LBB5_75:
	s_or_b32 exec_lo, exec_lo, s2
	v_cmp_eq_f32_e32 vcc_lo, 0, v0
	s_and_b32 s0, s0, vcc_lo
	s_and_b32 exec_lo, exec_lo, s0
	s_cbranch_execz .LBB5_80
; %bb.76:
	s_mov_b32 s2, exec_lo
	s_brev_b32 s0, -2
.LBB5_77:                               ; =>This Inner Loop Header: Depth=1
	s_ff1_i32_b32 s3, s2
	v_readlane_b32 s4, v3, s3
	s_lshl_b32 s3, 1, s3
	s_andn2_b32 s2, s2, s3
	s_min_i32 s0, s0, s4
	s_cmp_lg_u32 s2, 0
	s_cbranch_scc1 .LBB5_77
; %bb.78:
	v_mbcnt_lo_u32_b32 v0, exec_lo, 0
	s_mov_b32 s2, exec_lo
	v_cmpx_eq_u32_e32 0, v0
	s_xor_b32 s2, exec_lo, s2
	s_cbranch_execz .LBB5_80
; %bb.79:
	v_mov_b32_e32 v0, 0
	v_mov_b32_e32 v3, s0
	global_atomic_smin v0, v3, s[20:21]
.LBB5_80:
	s_or_b32 exec_lo, exec_lo, s1
	v_cmp_eq_u32_e32 vcc_lo, 0, v13
	s_waitcnt_vscnt null, 0x0
	buffer_gl1_inv
	buffer_gl0_inv
	s_and_b32 exec_lo, exec_lo, vcc_lo
	s_cbranch_execz .LBB5_82
; %bb.81:
	v_add_co_u32 v0, vcc_lo, s16, v1
	v_add_co_ci_u32_e64 v1, null, s17, v2, vcc_lo
	v_mov_b32_e32 v2, 1
	global_store_dword v[0:1], v2, off
.LBB5_82:
	s_endpgm
	.section	.rodata,"a",@progbits
	.p2align	6, 0x0
	.amdhsa_kernel _ZN9rocsparseL12csrilu0_hashILj256ELj32ELj16EfEEviPKiS2_PT2_S2_PiS2_S5_S5_d21rocsparse_index_base_imNS_24const_host_device_scalarIfEENS7_IdEENS7_IS3_EEb
		.amdhsa_group_segment_fixed_size 32768
		.amdhsa_private_segment_fixed_size 0
		.amdhsa_kernarg_size 124
		.amdhsa_user_sgpr_count 6
		.amdhsa_user_sgpr_private_segment_buffer 1
		.amdhsa_user_sgpr_dispatch_ptr 0
		.amdhsa_user_sgpr_queue_ptr 0
		.amdhsa_user_sgpr_kernarg_segment_ptr 1
		.amdhsa_user_sgpr_dispatch_id 0
		.amdhsa_user_sgpr_flat_scratch_init 0
		.amdhsa_user_sgpr_private_segment_size 0
		.amdhsa_wavefront_size32 1
		.amdhsa_uses_dynamic_stack 0
		.amdhsa_system_sgpr_private_segment_wavefront_offset 0
		.amdhsa_system_sgpr_workgroup_id_x 1
		.amdhsa_system_sgpr_workgroup_id_y 0
		.amdhsa_system_sgpr_workgroup_id_z 0
		.amdhsa_system_sgpr_workgroup_info 0
		.amdhsa_system_vgpr_workitem_id 0
		.amdhsa_next_free_vgpr 113
		.amdhsa_next_free_sgpr 40
		.amdhsa_reserve_vcc 1
		.amdhsa_reserve_flat_scratch 0
		.amdhsa_float_round_mode_32 0
		.amdhsa_float_round_mode_16_64 0
		.amdhsa_float_denorm_mode_32 3
		.amdhsa_float_denorm_mode_16_64 3
		.amdhsa_dx10_clamp 1
		.amdhsa_ieee_mode 1
		.amdhsa_fp16_overflow 0
		.amdhsa_workgroup_processor_mode 1
		.amdhsa_memory_ordered 1
		.amdhsa_forward_progress 1
		.amdhsa_shared_vgpr_count 0
		.amdhsa_exception_fp_ieee_invalid_op 0
		.amdhsa_exception_fp_denorm_src 0
		.amdhsa_exception_fp_ieee_div_zero 0
		.amdhsa_exception_fp_ieee_overflow 0
		.amdhsa_exception_fp_ieee_underflow 0
		.amdhsa_exception_fp_ieee_inexact 0
		.amdhsa_exception_int_div_zero 0
	.end_amdhsa_kernel
	.section	.text._ZN9rocsparseL12csrilu0_hashILj256ELj32ELj16EfEEviPKiS2_PT2_S2_PiS2_S5_S5_d21rocsparse_index_base_imNS_24const_host_device_scalarIfEENS7_IdEENS7_IS3_EEb,"axG",@progbits,_ZN9rocsparseL12csrilu0_hashILj256ELj32ELj16EfEEviPKiS2_PT2_S2_PiS2_S5_S5_d21rocsparse_index_base_imNS_24const_host_device_scalarIfEENS7_IdEENS7_IS3_EEb,comdat
.Lfunc_end5:
	.size	_ZN9rocsparseL12csrilu0_hashILj256ELj32ELj16EfEEviPKiS2_PT2_S2_PiS2_S5_S5_d21rocsparse_index_base_imNS_24const_host_device_scalarIfEENS7_IdEENS7_IS3_EEb, .Lfunc_end5-_ZN9rocsparseL12csrilu0_hashILj256ELj32ELj16EfEEviPKiS2_PT2_S2_PiS2_S5_S5_d21rocsparse_index_base_imNS_24const_host_device_scalarIfEENS7_IdEENS7_IS3_EEb
                                        ; -- End function
	.set _ZN9rocsparseL12csrilu0_hashILj256ELj32ELj16EfEEviPKiS2_PT2_S2_PiS2_S5_S5_d21rocsparse_index_base_imNS_24const_host_device_scalarIfEENS7_IdEENS7_IS3_EEb.num_vgpr, 24
	.set _ZN9rocsparseL12csrilu0_hashILj256ELj32ELj16EfEEviPKiS2_PT2_S2_PiS2_S5_S5_d21rocsparse_index_base_imNS_24const_host_device_scalarIfEENS7_IdEENS7_IS3_EEb.num_agpr, 0
	.set _ZN9rocsparseL12csrilu0_hashILj256ELj32ELj16EfEEviPKiS2_PT2_S2_PiS2_S5_S5_d21rocsparse_index_base_imNS_24const_host_device_scalarIfEENS7_IdEENS7_IS3_EEb.numbered_sgpr, 40
	.set _ZN9rocsparseL12csrilu0_hashILj256ELj32ELj16EfEEviPKiS2_PT2_S2_PiS2_S5_S5_d21rocsparse_index_base_imNS_24const_host_device_scalarIfEENS7_IdEENS7_IS3_EEb.num_named_barrier, 0
	.set _ZN9rocsparseL12csrilu0_hashILj256ELj32ELj16EfEEviPKiS2_PT2_S2_PiS2_S5_S5_d21rocsparse_index_base_imNS_24const_host_device_scalarIfEENS7_IdEENS7_IS3_EEb.private_seg_size, 0
	.set _ZN9rocsparseL12csrilu0_hashILj256ELj32ELj16EfEEviPKiS2_PT2_S2_PiS2_S5_S5_d21rocsparse_index_base_imNS_24const_host_device_scalarIfEENS7_IdEENS7_IS3_EEb.uses_vcc, 1
	.set _ZN9rocsparseL12csrilu0_hashILj256ELj32ELj16EfEEviPKiS2_PT2_S2_PiS2_S5_S5_d21rocsparse_index_base_imNS_24const_host_device_scalarIfEENS7_IdEENS7_IS3_EEb.uses_flat_scratch, 0
	.set _ZN9rocsparseL12csrilu0_hashILj256ELj32ELj16EfEEviPKiS2_PT2_S2_PiS2_S5_S5_d21rocsparse_index_base_imNS_24const_host_device_scalarIfEENS7_IdEENS7_IS3_EEb.has_dyn_sized_stack, 0
	.set _ZN9rocsparseL12csrilu0_hashILj256ELj32ELj16EfEEviPKiS2_PT2_S2_PiS2_S5_S5_d21rocsparse_index_base_imNS_24const_host_device_scalarIfEENS7_IdEENS7_IS3_EEb.has_recursion, 0
	.set _ZN9rocsparseL12csrilu0_hashILj256ELj32ELj16EfEEviPKiS2_PT2_S2_PiS2_S5_S5_d21rocsparse_index_base_imNS_24const_host_device_scalarIfEENS7_IdEENS7_IS3_EEb.has_indirect_call, 0
	.section	.AMDGPU.csdata,"",@progbits
; Kernel info:
; codeLenInByte = 2684
; TotalNumSgprs: 42
; NumVgprs: 24
; ScratchSize: 0
; MemoryBound: 0
; FloatMode: 240
; IeeeMode: 1
; LDSByteSize: 32768 bytes/workgroup (compile time only)
; SGPRBlocks: 0
; VGPRBlocks: 14
; NumSGPRsForWavesPerEU: 42
; NumVGPRsForWavesPerEU: 113
; Occupancy: 8
; WaveLimiterHint : 1
; COMPUTE_PGM_RSRC2:SCRATCH_EN: 0
; COMPUTE_PGM_RSRC2:USER_SGPR: 6
; COMPUTE_PGM_RSRC2:TRAP_HANDLER: 0
; COMPUTE_PGM_RSRC2:TGID_X_EN: 1
; COMPUTE_PGM_RSRC2:TGID_Y_EN: 0
; COMPUTE_PGM_RSRC2:TGID_Z_EN: 0
; COMPUTE_PGM_RSRC2:TIDIG_COMP_CNT: 0
	.section	.text._ZN9rocsparseL17csrilu0_binsearchILj256ELj32ELb0EfEEviPKiS2_PT2_S2_PiS2_S5_S5_d21rocsparse_index_base_imNS_24const_host_device_scalarIfEENS7_IdEENS7_IS3_EEb,"axG",@progbits,_ZN9rocsparseL17csrilu0_binsearchILj256ELj32ELb0EfEEviPKiS2_PT2_S2_PiS2_S5_S5_d21rocsparse_index_base_imNS_24const_host_device_scalarIfEENS7_IdEENS7_IS3_EEb,comdat
	.globl	_ZN9rocsparseL17csrilu0_binsearchILj256ELj32ELb0EfEEviPKiS2_PT2_S2_PiS2_S5_S5_d21rocsparse_index_base_imNS_24const_host_device_scalarIfEENS7_IdEENS7_IS3_EEb ; -- Begin function _ZN9rocsparseL17csrilu0_binsearchILj256ELj32ELb0EfEEviPKiS2_PT2_S2_PiS2_S5_S5_d21rocsparse_index_base_imNS_24const_host_device_scalarIfEENS7_IdEENS7_IS3_EEb
	.p2align	8
	.type	_ZN9rocsparseL17csrilu0_binsearchILj256ELj32ELb0EfEEviPKiS2_PT2_S2_PiS2_S5_S5_d21rocsparse_index_base_imNS_24const_host_device_scalarIfEENS7_IdEENS7_IS3_EEb,@function
_ZN9rocsparseL17csrilu0_binsearchILj256ELj32ELb0EfEEviPKiS2_PT2_S2_PiS2_S5_S5_d21rocsparse_index_base_imNS_24const_host_device_scalarIfEENS7_IdEENS7_IS3_EEb: ; @_ZN9rocsparseL17csrilu0_binsearchILj256ELj32ELb0EfEEviPKiS2_PT2_S2_PiS2_S5_S5_d21rocsparse_index_base_imNS_24const_host_device_scalarIfEENS7_IdEENS7_IS3_EEb
; %bb.0:
	s_clause 0x2
	s_load_dword s0, s[4:5], 0x78
	s_load_dwordx2 s[2:3], s[4:5], 0x50
	s_load_dwordx8 s[24:31], s[4:5], 0x58
	s_waitcnt lgkmcnt(0)
	s_bitcmp1_b32 s0, 0
	s_cselect_b32 s0, -1, 0
	s_cmp_eq_u32 s3, 0
	s_cselect_b32 s7, -1, 0
	s_cmp_lg_u32 s3, 0
	s_cselect_b32 s3, -1, 0
	s_or_b32 s9, s7, s0
	s_xor_b32 s8, s9, -1
	s_and_b32 s0, s7, exec_lo
	s_cselect_b32 s1, 0, s29
	s_cselect_b32 s0, 0, s28
	s_and_b32 vcc_lo, exec_lo, s9
	s_cbranch_vccnz .LBB6_2
; %bb.1:
	s_load_dword s0, s[26:27], 0x0
	s_waitcnt lgkmcnt(0)
	v_mov_b32_e32 v16, s0
	s_mov_b64 s[0:1], s[28:29]
	s_branch .LBB6_3
.LBB6_2:
	v_cndmask_b32_e64 v16, s26, 0, s7
.LBB6_3:
	v_mov_b32_e32 v4, s1
	v_cndmask_b32_e64 v1, 0, 1, s8
	v_mov_b32_e32 v3, s0
	s_andn2_b32 vcc_lo, exec_lo, s8
	s_cbranch_vccnz .LBB6_5
; %bb.4:
	v_mov_b32_e32 v2, s28
	v_mov_b32_e32 v3, s29
	flat_load_dwordx2 v[3:4], v[2:3]
.LBB6_5:
	v_cmp_ne_u32_e32 vcc_lo, 1, v1
	s_cbranch_vccnz .LBB6_7
; %bb.6:
	s_load_dword s0, s[30:31], 0x0
	s_waitcnt lgkmcnt(0)
	v_mov_b32_e32 v17, s0
	s_branch .LBB6_8
.LBB6_7:
	v_cndmask_b32_e64 v17, s30, 0, s7
.LBB6_8:
	s_load_dword s0, s[4:5], 0x0
	v_lshrrev_b32_e32 v1, 5, v0
	s_lshl_b32 s1, s6, 3
	v_and_or_b32 v1, 0x7fffff8, s1, v1
	s_waitcnt lgkmcnt(0)
	v_cmp_gt_i32_e32 vcc_lo, s0, v1
	s_and_saveexec_b32 s0, vcc_lo
	s_cbranch_execz .LBB6_44
; %bb.9:
	s_load_dwordx16 s[8:23], s[4:5], 0x8
	v_lshlrev_b32_e32 v1, 2, v1
	v_and_b32_e32 v0, 31, v0
	s_mov_b32 s0, exec_lo
	s_waitcnt lgkmcnt(0)
	global_load_dword v5, v1, s[18:19]
	s_waitcnt vmcnt(0)
	v_ashrrev_i32_e32 v6, 31, v5
	v_lshlrev_b64 v[1:2], 2, v[5:6]
	v_add_co_u32 v8, vcc_lo, s8, v1
	v_add_co_ci_u32_e64 v9, null, s9, v2, vcc_lo
	v_add_co_u32 v6, vcc_lo, s14, v1
	v_add_co_ci_u32_e64 v7, null, s15, v2, vcc_lo
	global_load_dword v10, v[8:9], off
	global_load_dword v6, v[6:7], off
	s_waitcnt vmcnt(1)
	v_subrev_nc_u32_e32 v7, s2, v10
	s_waitcnt vmcnt(0)
	v_cmpx_lt_i32_e64 v7, v6
	s_cbranch_execz .LBB6_26
; %bb.10:
	global_load_dword v8, v[8:9], off offset:4
	v_add_nc_u32_e32 v18, 1, v0
	s_mov_b32 s1, 0
	s_waitcnt vmcnt(0)
	v_xad_u32 v19, s2, -1, v8
	s_branch .LBB6_13
.LBB6_11:                               ;   in Loop: Header=BB6_13 Depth=1
	s_or_b32 exec_lo, exec_lo, s7
	v_cmp_ge_i32_e32 vcc_lo, v7, v6
	s_orn2_b32 s7, vcc_lo, exec_lo
.LBB6_12:                               ;   in Loop: Header=BB6_13 Depth=1
	s_or_b32 exec_lo, exec_lo, s6
	s_and_b32 s6, exec_lo, s7
	s_or_b32 s1, s6, s1
	s_andn2_b32 exec_lo, exec_lo, s1
	s_cbranch_execz .LBB6_26
.LBB6_13:                               ; =>This Loop Header: Depth=1
                                        ;     Child Loop BB6_15 Depth 2
                                        ;     Child Loop BB6_20 Depth 2
                                        ;       Child Loop BB6_22 Depth 3
	v_ashrrev_i32_e32 v8, 31, v7
	s_mov_b32 s6, exec_lo
	v_lshlrev_b64 v[9:10], 2, v[7:8]
	v_add_co_u32 v11, vcc_lo, s10, v9
	v_add_co_ci_u32_e64 v12, null, s11, v10, vcc_lo
	v_add_co_u32 v9, vcc_lo, s12, v9
	v_add_co_ci_u32_e64 v10, null, s13, v10, vcc_lo
	global_load_dword v8, v[11:12], off
	s_waitcnt vmcnt(0)
	v_subrev_nc_u32_e32 v11, s2, v8
	v_ashrrev_i32_e32 v12, 31, v11
	v_lshlrev_b64 v[11:12], 2, v[11:12]
	v_add_co_u32 v14, vcc_lo, s8, v11
	v_add_co_ci_u32_e64 v15, null, s9, v12, vcc_lo
	v_add_co_u32 v20, vcc_lo, s14, v11
	v_add_co_ci_u32_e64 v21, null, s15, v12, vcc_lo
	;; [unrolled: 2-line block ×3, first 2 shown]
	global_load_dword v13, v[9:10], off
	global_load_dword v14, v[14:15], off offset:4
	global_load_dword v8, v[20:21], off
	global_load_dword v15, v[11:12], off glc dlc
	s_waitcnt vmcnt(0)
	v_cmpx_eq_u32_e32 0, v15
	s_cbranch_execz .LBB6_16
; %bb.14:                               ;   in Loop: Header=BB6_13 Depth=1
	s_mov_b32 s7, 0
.LBB6_15:                               ;   Parent Loop BB6_13 Depth=1
                                        ; =>  This Inner Loop Header: Depth=2
	global_load_dword v15, v[11:12], off glc dlc
	s_waitcnt vmcnt(0)
	v_cmp_ne_u32_e32 vcc_lo, 0, v15
	s_or_b32 s7, vcc_lo, s7
	s_andn2_b32 exec_lo, exec_lo, s7
	s_cbranch_execnz .LBB6_15
.LBB6_16:                               ;   in Loop: Header=BB6_13 Depth=1
	s_or_b32 exec_lo, exec_lo, s6
	v_subrev_nc_u32_e32 v20, s2, v14
	v_cmp_eq_u32_e32 vcc_lo, -1, v8
	buffer_gl1_inv
	buffer_gl0_inv
	s_mov_b32 s7, -1
	s_mov_b32 s6, exec_lo
	v_add_nc_u32_e32 v11, -1, v20
	v_cndmask_b32_e32 v11, v8, v11, vcc_lo
	v_ashrrev_i32_e32 v12, 31, v11
	v_lshlrev_b64 v[14:15], 2, v[11:12]
	v_add_co_u32 v14, vcc_lo, s12, v14
	v_add_co_ci_u32_e64 v15, null, s13, v15, vcc_lo
	global_load_dword v12, v[14:15], off
	s_waitcnt vmcnt(0)
	v_cmpx_neq_f32_e32 0, v12
	s_xor_b32 s6, exec_lo, s6
	s_cbranch_execz .LBB6_12
; %bb.17:                               ;   in Loop: Header=BB6_13 Depth=1
	v_div_scale_f32 v8, null, v12, v12, v13
	v_div_scale_f32 v21, vcc_lo, v13, v12, v13
	v_add_nc_u32_e32 v7, 1, v7
	v_rcp_f32_e32 v14, v8
	s_mov_b32 s7, exec_lo
	v_fma_f32 v15, -v8, v14, 1.0
	v_fmac_f32_e32 v14, v15, v14
	v_mul_f32_e32 v15, v21, v14
	v_fma_f32 v22, -v8, v15, v21
	v_fmac_f32_e32 v15, v22, v14
	v_fma_f32 v8, -v8, v15, v21
	v_div_fmas_f32 v14, v8, v14, v15
	v_add_nc_u32_e32 v8, v18, v11
	v_div_fixup_f32 v21, v14, v12, v13
	global_store_dword v[9:10], v21, off
	v_cmpx_lt_i32_e64 v8, v20
	s_cbranch_execz .LBB6_11
; %bb.18:                               ;   in Loop: Header=BB6_13 Depth=1
	v_mov_b32_e32 v10, v7
	s_mov_b32 s18, 0
	s_branch .LBB6_20
.LBB6_19:                               ;   in Loop: Header=BB6_20 Depth=2
	s_or_b32 exec_lo, exec_lo, s19
	v_add_nc_u32_e32 v8, 32, v8
	v_cmp_ge_i32_e32 vcc_lo, v8, v20
	s_or_b32 s18, vcc_lo, s18
	s_andn2_b32 exec_lo, exec_lo, s18
	s_cbranch_execz .LBB6_11
.LBB6_20:                               ;   Parent Loop BB6_13 Depth=1
                                        ; =>  This Loop Header: Depth=2
                                        ;       Child Loop BB6_22 Depth 3
	v_add_nc_u32_e32 v9, v10, v19
	s_mov_b32 s19, exec_lo
	v_ashrrev_i32_e32 v14, 1, v9
	v_ashrrev_i32_e32 v9, 31, v8
	;; [unrolled: 1-line block ×3, first 2 shown]
	v_lshlrev_b64 v[12:13], 2, v[8:9]
	v_lshlrev_b64 v[22:23], 2, v[14:15]
	v_add_co_u32 v24, vcc_lo, s10, v12
	v_add_co_ci_u32_e64 v25, null, s11, v13, vcc_lo
	v_add_co_u32 v22, vcc_lo, s10, v22
	v_add_co_ci_u32_e64 v23, null, s11, v23, vcc_lo
	s_clause 0x1
	global_load_dword v9, v[24:25], off
	global_load_dword v11, v[22:23], off
	v_cmpx_lt_i32_e64 v10, v19
	s_cbranch_execz .LBB6_24
; %bb.21:                               ;   in Loop: Header=BB6_20 Depth=2
	v_mov_b32_e32 v22, v19
	s_mov_b32 s26, 0
	.p2align	6
.LBB6_22:                               ;   Parent Loop BB6_13 Depth=1
                                        ;     Parent Loop BB6_20 Depth=2
                                        ; =>    This Inner Loop Header: Depth=3
	v_add_nc_u32_e32 v15, 1, v14
	s_waitcnt vmcnt(0)
	v_cmp_lt_i32_e32 vcc_lo, v11, v9
	v_cndmask_b32_e32 v22, v14, v22, vcc_lo
	v_cndmask_b32_e32 v10, v10, v15, vcc_lo
	v_add_nc_u32_e32 v11, v22, v10
	v_ashrrev_i32_e32 v14, 1, v11
	v_ashrrev_i32_e32 v15, 31, v14
	v_lshlrev_b64 v[23:24], 2, v[14:15]
	v_add_co_u32 v23, vcc_lo, s10, v23
	v_add_co_ci_u32_e64 v24, null, s11, v24, vcc_lo
	v_cmp_ge_i32_e32 vcc_lo, v10, v22
	global_load_dword v11, v[23:24], off
	s_or_b32 s26, vcc_lo, s26
	s_andn2_b32 exec_lo, exec_lo, s26
	s_cbranch_execnz .LBB6_22
; %bb.23:                               ;   in Loop: Header=BB6_20 Depth=2
	s_or_b32 exec_lo, exec_lo, s26
.LBB6_24:                               ;   in Loop: Header=BB6_20 Depth=2
	s_or_b32 exec_lo, exec_lo, s19
	s_mov_b32 s19, exec_lo
	s_waitcnt vmcnt(0)
	v_cmpx_eq_u32_e64 v11, v9
	s_cbranch_execz .LBB6_19
; %bb.25:                               ;   in Loop: Header=BB6_20 Depth=2
	v_ashrrev_i32_e32 v11, 31, v10
	v_lshlrev_b64 v[14:15], 2, v[10:11]
	v_add_co_u32 v11, vcc_lo, s12, v12
	v_add_co_ci_u32_e64 v12, null, s13, v13, vcc_lo
	v_add_co_u32 v13, vcc_lo, s12, v14
	v_add_co_ci_u32_e64 v14, null, s13, v15, vcc_lo
	s_clause 0x1
	global_load_dword v9, v[11:12], off
	global_load_dword v11, v[13:14], off
	s_waitcnt vmcnt(0)
	v_fma_f32 v9, -v21, v9, v11
	global_store_dword v[13:14], v9, off
	s_branch .LBB6_19
.LBB6_26:
	s_or_b32 exec_lo, exec_lo, s0
	s_mov_b32 s6, -1
	s_mov_b32 s1, exec_lo
	s_waitcnt_vscnt null, 0x0
	buffer_gl0_inv
	v_cmpx_lt_i32_e32 -1, v6
	s_cbranch_execz .LBB6_42
; %bb.27:
	v_mov_b32_e32 v7, 0
	v_cmp_eq_u32_e64 s0, 0, v0
	v_lshlrev_b64 v[6:7], 2, v[6:7]
	v_add_co_u32 v8, vcc_lo, s12, v6
	v_add_co_ci_u32_e64 v9, null, s13, v7, vcc_lo
	global_load_dword v10, v[8:9], off
	s_waitcnt vmcnt(0)
	v_cmp_gt_f32_e32 vcc_lo, 0, v10
	v_cndmask_b32_e64 v6, v10, -v10, vcc_lo
	s_andn2_b32 vcc_lo, exec_lo, s3
	v_cvt_f64_f32_e32 v[6:7], v6
	s_cbranch_vccnz .LBB6_31
; %bb.28:
	v_cvt_f64_f32_e32 v[11:12], v16
	s_cmp_eq_u64 s[24:25], 8
	s_cselect_b32 vcc_lo, -1, 0
	v_cndmask_b32_e32 v4, v12, v4, vcc_lo
	v_cndmask_b32_e32 v3, v11, v3, vcc_lo
	v_cmp_ge_f64_e32 vcc_lo, v[3:4], v[6:7]
	s_and_b32 s6, s0, vcc_lo
	s_and_saveexec_b32 s3, s6
	s_cbranch_execz .LBB6_30
; %bb.29:
	global_store_dword v[8:9], v17, off
.LBB6_30:
	s_or_b32 exec_lo, exec_lo, s3
	s_mov_b32 s6, 0
.LBB6_31:
	s_andn2_b32 vcc_lo, exec_lo, s6
	s_cbranch_vccnz .LBB6_42
; %bb.32:
	s_load_dwordx2 s[4:5], s[4:5], 0x48
	v_add_nc_u32_e32 v3, s2, v5
	s_waitcnt lgkmcnt(0)
	v_cmp_ge_f64_e32 vcc_lo, s[4:5], v[6:7]
	s_and_b32 s3, s0, vcc_lo
	s_and_saveexec_b32 s2, s3
	s_cbranch_execz .LBB6_37
; %bb.33:
	s_mov_b32 s4, exec_lo
	s_brev_b32 s3, -2
.LBB6_34:                               ; =>This Inner Loop Header: Depth=1
	s_ff1_i32_b32 s5, s4
	v_readlane_b32 s6, v3, s5
	s_lshl_b32 s5, 1, s5
	s_andn2_b32 s4, s4, s5
	s_min_i32 s3, s3, s6
	s_cmp_lg_u32 s4, 0
	s_cbranch_scc1 .LBB6_34
; %bb.35:
	v_mbcnt_lo_u32_b32 v4, exec_lo, 0
	s_mov_b32 s4, exec_lo
	v_cmpx_eq_u32_e32 0, v4
	s_xor_b32 s4, exec_lo, s4
	s_cbranch_execz .LBB6_37
; %bb.36:
	v_mov_b32_e32 v4, 0
	v_mov_b32_e32 v5, s3
	global_atomic_smin v4, v5, s[22:23]
.LBB6_37:
	s_or_b32 exec_lo, exec_lo, s2
	v_cmp_eq_f32_e32 vcc_lo, 0, v10
	s_and_b32 s0, s0, vcc_lo
	s_and_b32 exec_lo, exec_lo, s0
	s_cbranch_execz .LBB6_42
; %bb.38:
	s_mov_b32 s2, exec_lo
	s_brev_b32 s0, -2
.LBB6_39:                               ; =>This Inner Loop Header: Depth=1
	s_ff1_i32_b32 s3, s2
	v_readlane_b32 s4, v3, s3
	s_lshl_b32 s3, 1, s3
	s_andn2_b32 s2, s2, s3
	s_min_i32 s0, s0, s4
	s_cmp_lg_u32 s2, 0
	s_cbranch_scc1 .LBB6_39
; %bb.40:
	v_mbcnt_lo_u32_b32 v3, exec_lo, 0
	s_mov_b32 s2, exec_lo
	v_cmpx_eq_u32_e32 0, v3
	s_xor_b32 s2, exec_lo, s2
	s_cbranch_execz .LBB6_42
; %bb.41:
	v_mov_b32_e32 v3, 0
	v_mov_b32_e32 v4, s0
	global_atomic_smin v3, v4, s[20:21]
.LBB6_42:
	s_or_b32 exec_lo, exec_lo, s1
	v_cmp_eq_u32_e32 vcc_lo, 0, v0
	s_waitcnt_vscnt null, 0x0
	buffer_gl1_inv
	buffer_gl0_inv
	s_and_b32 exec_lo, exec_lo, vcc_lo
	s_cbranch_execz .LBB6_44
; %bb.43:
	v_add_co_u32 v0, vcc_lo, s16, v1
	v_add_co_ci_u32_e64 v1, null, s17, v2, vcc_lo
	v_mov_b32_e32 v2, 1
	global_store_dword v[0:1], v2, off
.LBB6_44:
	s_endpgm
	.section	.rodata,"a",@progbits
	.p2align	6, 0x0
	.amdhsa_kernel _ZN9rocsparseL17csrilu0_binsearchILj256ELj32ELb0EfEEviPKiS2_PT2_S2_PiS2_S5_S5_d21rocsparse_index_base_imNS_24const_host_device_scalarIfEENS7_IdEENS7_IS3_EEb
		.amdhsa_group_segment_fixed_size 0
		.amdhsa_private_segment_fixed_size 0
		.amdhsa_kernarg_size 124
		.amdhsa_user_sgpr_count 6
		.amdhsa_user_sgpr_private_segment_buffer 1
		.amdhsa_user_sgpr_dispatch_ptr 0
		.amdhsa_user_sgpr_queue_ptr 0
		.amdhsa_user_sgpr_kernarg_segment_ptr 1
		.amdhsa_user_sgpr_dispatch_id 0
		.amdhsa_user_sgpr_flat_scratch_init 0
		.amdhsa_user_sgpr_private_segment_size 0
		.amdhsa_wavefront_size32 1
		.amdhsa_uses_dynamic_stack 0
		.amdhsa_system_sgpr_private_segment_wavefront_offset 0
		.amdhsa_system_sgpr_workgroup_id_x 1
		.amdhsa_system_sgpr_workgroup_id_y 0
		.amdhsa_system_sgpr_workgroup_id_z 0
		.amdhsa_system_sgpr_workgroup_info 0
		.amdhsa_system_vgpr_workitem_id 0
		.amdhsa_next_free_vgpr 26
		.amdhsa_next_free_sgpr 32
		.amdhsa_reserve_vcc 1
		.amdhsa_reserve_flat_scratch 0
		.amdhsa_float_round_mode_32 0
		.amdhsa_float_round_mode_16_64 0
		.amdhsa_float_denorm_mode_32 3
		.amdhsa_float_denorm_mode_16_64 3
		.amdhsa_dx10_clamp 1
		.amdhsa_ieee_mode 1
		.amdhsa_fp16_overflow 0
		.amdhsa_workgroup_processor_mode 1
		.amdhsa_memory_ordered 1
		.amdhsa_forward_progress 1
		.amdhsa_shared_vgpr_count 0
		.amdhsa_exception_fp_ieee_invalid_op 0
		.amdhsa_exception_fp_denorm_src 0
		.amdhsa_exception_fp_ieee_div_zero 0
		.amdhsa_exception_fp_ieee_overflow 0
		.amdhsa_exception_fp_ieee_underflow 0
		.amdhsa_exception_fp_ieee_inexact 0
		.amdhsa_exception_int_div_zero 0
	.end_amdhsa_kernel
	.section	.text._ZN9rocsparseL17csrilu0_binsearchILj256ELj32ELb0EfEEviPKiS2_PT2_S2_PiS2_S5_S5_d21rocsparse_index_base_imNS_24const_host_device_scalarIfEENS7_IdEENS7_IS3_EEb,"axG",@progbits,_ZN9rocsparseL17csrilu0_binsearchILj256ELj32ELb0EfEEviPKiS2_PT2_S2_PiS2_S5_S5_d21rocsparse_index_base_imNS_24const_host_device_scalarIfEENS7_IdEENS7_IS3_EEb,comdat
.Lfunc_end6:
	.size	_ZN9rocsparseL17csrilu0_binsearchILj256ELj32ELb0EfEEviPKiS2_PT2_S2_PiS2_S5_S5_d21rocsparse_index_base_imNS_24const_host_device_scalarIfEENS7_IdEENS7_IS3_EEb, .Lfunc_end6-_ZN9rocsparseL17csrilu0_binsearchILj256ELj32ELb0EfEEviPKiS2_PT2_S2_PiS2_S5_S5_d21rocsparse_index_base_imNS_24const_host_device_scalarIfEENS7_IdEENS7_IS3_EEb
                                        ; -- End function
	.set _ZN9rocsparseL17csrilu0_binsearchILj256ELj32ELb0EfEEviPKiS2_PT2_S2_PiS2_S5_S5_d21rocsparse_index_base_imNS_24const_host_device_scalarIfEENS7_IdEENS7_IS3_EEb.num_vgpr, 26
	.set _ZN9rocsparseL17csrilu0_binsearchILj256ELj32ELb0EfEEviPKiS2_PT2_S2_PiS2_S5_S5_d21rocsparse_index_base_imNS_24const_host_device_scalarIfEENS7_IdEENS7_IS3_EEb.num_agpr, 0
	.set _ZN9rocsparseL17csrilu0_binsearchILj256ELj32ELb0EfEEviPKiS2_PT2_S2_PiS2_S5_S5_d21rocsparse_index_base_imNS_24const_host_device_scalarIfEENS7_IdEENS7_IS3_EEb.numbered_sgpr, 32
	.set _ZN9rocsparseL17csrilu0_binsearchILj256ELj32ELb0EfEEviPKiS2_PT2_S2_PiS2_S5_S5_d21rocsparse_index_base_imNS_24const_host_device_scalarIfEENS7_IdEENS7_IS3_EEb.num_named_barrier, 0
	.set _ZN9rocsparseL17csrilu0_binsearchILj256ELj32ELb0EfEEviPKiS2_PT2_S2_PiS2_S5_S5_d21rocsparse_index_base_imNS_24const_host_device_scalarIfEENS7_IdEENS7_IS3_EEb.private_seg_size, 0
	.set _ZN9rocsparseL17csrilu0_binsearchILj256ELj32ELb0EfEEviPKiS2_PT2_S2_PiS2_S5_S5_d21rocsparse_index_base_imNS_24const_host_device_scalarIfEENS7_IdEENS7_IS3_EEb.uses_vcc, 1
	.set _ZN9rocsparseL17csrilu0_binsearchILj256ELj32ELb0EfEEviPKiS2_PT2_S2_PiS2_S5_S5_d21rocsparse_index_base_imNS_24const_host_device_scalarIfEENS7_IdEENS7_IS3_EEb.uses_flat_scratch, 0
	.set _ZN9rocsparseL17csrilu0_binsearchILj256ELj32ELb0EfEEviPKiS2_PT2_S2_PiS2_S5_S5_d21rocsparse_index_base_imNS_24const_host_device_scalarIfEENS7_IdEENS7_IS3_EEb.has_dyn_sized_stack, 0
	.set _ZN9rocsparseL17csrilu0_binsearchILj256ELj32ELb0EfEEviPKiS2_PT2_S2_PiS2_S5_S5_d21rocsparse_index_base_imNS_24const_host_device_scalarIfEENS7_IdEENS7_IS3_EEb.has_recursion, 0
	.set _ZN9rocsparseL17csrilu0_binsearchILj256ELj32ELb0EfEEviPKiS2_PT2_S2_PiS2_S5_S5_d21rocsparse_index_base_imNS_24const_host_device_scalarIfEENS7_IdEENS7_IS3_EEb.has_indirect_call, 0
	.section	.AMDGPU.csdata,"",@progbits
; Kernel info:
; codeLenInByte = 1664
; TotalNumSgprs: 34
; NumVgprs: 26
; ScratchSize: 0
; MemoryBound: 0
; FloatMode: 240
; IeeeMode: 1
; LDSByteSize: 0 bytes/workgroup (compile time only)
; SGPRBlocks: 0
; VGPRBlocks: 3
; NumSGPRsForWavesPerEU: 34
; NumVGPRsForWavesPerEU: 26
; Occupancy: 16
; WaveLimiterHint : 1
; COMPUTE_PGM_RSRC2:SCRATCH_EN: 0
; COMPUTE_PGM_RSRC2:USER_SGPR: 6
; COMPUTE_PGM_RSRC2:TRAP_HANDLER: 0
; COMPUTE_PGM_RSRC2:TGID_X_EN: 1
; COMPUTE_PGM_RSRC2:TGID_Y_EN: 0
; COMPUTE_PGM_RSRC2:TGID_Z_EN: 0
; COMPUTE_PGM_RSRC2:TIDIG_COMP_CNT: 0
	.section	.text._ZN9rocsparseL12csrilu0_hashILj256ELj64ELj1EfEEviPKiS2_PT2_S2_PiS2_S5_S5_d21rocsparse_index_base_imNS_24const_host_device_scalarIfEENS7_IdEENS7_IS3_EEb,"axG",@progbits,_ZN9rocsparseL12csrilu0_hashILj256ELj64ELj1EfEEviPKiS2_PT2_S2_PiS2_S5_S5_d21rocsparse_index_base_imNS_24const_host_device_scalarIfEENS7_IdEENS7_IS3_EEb,comdat
	.globl	_ZN9rocsparseL12csrilu0_hashILj256ELj64ELj1EfEEviPKiS2_PT2_S2_PiS2_S5_S5_d21rocsparse_index_base_imNS_24const_host_device_scalarIfEENS7_IdEENS7_IS3_EEb ; -- Begin function _ZN9rocsparseL12csrilu0_hashILj256ELj64ELj1EfEEviPKiS2_PT2_S2_PiS2_S5_S5_d21rocsparse_index_base_imNS_24const_host_device_scalarIfEENS7_IdEENS7_IS3_EEb
	.p2align	8
	.type	_ZN9rocsparseL12csrilu0_hashILj256ELj64ELj1EfEEviPKiS2_PT2_S2_PiS2_S5_S5_d21rocsparse_index_base_imNS_24const_host_device_scalarIfEENS7_IdEENS7_IS3_EEb,@function
_ZN9rocsparseL12csrilu0_hashILj256ELj64ELj1EfEEviPKiS2_PT2_S2_PiS2_S5_S5_d21rocsparse_index_base_imNS_24const_host_device_scalarIfEENS7_IdEENS7_IS3_EEb: ; @_ZN9rocsparseL12csrilu0_hashILj256ELj64ELj1EfEEviPKiS2_PT2_S2_PiS2_S5_S5_d21rocsparse_index_base_imNS_24const_host_device_scalarIfEENS7_IdEENS7_IS3_EEb
; %bb.0:
	s_clause 0x2
	s_load_dword s0, s[4:5], 0x78
	s_load_dwordx2 s[2:3], s[4:5], 0x50
	s_load_dwordx8 s[24:31], s[4:5], 0x58
	s_waitcnt lgkmcnt(0)
	s_bitcmp1_b32 s0, 0
	s_cselect_b32 s0, -1, 0
	s_cmp_eq_u32 s3, 0
	s_cselect_b32 s7, -1, 0
	s_cmp_lg_u32 s3, 0
	s_cselect_b32 s3, -1, 0
	s_or_b32 s9, s7, s0
	s_xor_b32 s8, s9, -1
	s_and_b32 s0, s7, exec_lo
	s_cselect_b32 s1, 0, s29
	s_cselect_b32 s0, 0, s28
	s_and_b32 vcc_lo, exec_lo, s9
	s_cbranch_vccnz .LBB7_2
; %bb.1:
	s_load_dword s0, s[26:27], 0x0
	s_waitcnt lgkmcnt(0)
	v_mov_b32_e32 v13, s0
	s_mov_b64 s[0:1], s[28:29]
	s_branch .LBB7_3
.LBB7_2:
	v_cndmask_b32_e64 v13, s26, 0, s7
.LBB7_3:
	v_mov_b32_e32 v3, s1
	v_cndmask_b32_e64 v1, 0, 1, s8
	v_mov_b32_e32 v2, s0
	s_andn2_b32 vcc_lo, exec_lo, s8
	s_cbranch_vccnz .LBB7_5
; %bb.4:
	v_mov_b32_e32 v2, s28
	v_mov_b32_e32 v3, s29
	flat_load_dwordx2 v[2:3], v[2:3]
.LBB7_5:
	v_cmp_ne_u32_e32 vcc_lo, 1, v1
	s_cbranch_vccnz .LBB7_7
; %bb.6:
	s_load_dword s0, s[30:31], 0x0
	s_waitcnt lgkmcnt(0)
	v_mov_b32_e32 v14, s0
	s_branch .LBB7_8
.LBB7_7:
	v_cndmask_b32_e64 v14, s30, 0, s7
.LBB7_8:
	s_load_dword s0, s[4:5], 0x0
	v_and_b32_e32 v8, 0xc0, v0
	v_lshrrev_b32_e32 v1, 6, v0
	s_lshl_b32 s1, s6, 2
	v_and_b32_e32 v12, 63, v0
	v_mov_b32_e32 v4, -1
	v_lshl_or_b32 v15, v8, 2, 0x400
	v_and_or_b32 v0, 0x3fffffc, s1, v1
	v_lshl_or_b32 v1, v12, 2, v15
	ds_write_b32 v1, v4
	s_waitcnt vmcnt(0) lgkmcnt(0)
	buffer_gl0_inv
	v_cmp_gt_i32_e32 vcc_lo, s0, v0
	s_and_saveexec_b32 s0, vcc_lo
	s_cbranch_execz .LBB7_80
; %bb.9:
	s_load_dwordx16 s[8:23], s[4:5], 0x8
	v_lshlrev_b32_e32 v0, 2, v0
	v_lshlrev_b32_e32 v16, 2, v8
	s_mov_b32 s0, exec_lo
	s_waitcnt lgkmcnt(0)
	global_load_dword v4, v0, s[18:19]
	s_waitcnt vmcnt(0)
	v_ashrrev_i32_e32 v5, 31, v4
	v_lshlrev_b64 v[0:1], 2, v[4:5]
	v_add_co_u32 v5, vcc_lo, s8, v0
	v_add_co_ci_u32_e64 v6, null, s9, v1, vcc_lo
	v_add_co_u32 v9, vcc_lo, s14, v0
	v_add_co_ci_u32_e64 v10, null, s15, v1, vcc_lo
	global_load_dwordx2 v[6:7], v[5:6], off
	global_load_dword v5, v[9:10], off
	s_waitcnt vmcnt(1)
	v_subrev_nc_u32_e32 v6, s2, v6
	v_subrev_nc_u32_e32 v9, s2, v7
	v_add_nc_u32_e32 v7, v6, v12
	v_cmpx_lt_i32_e64 v7, v9
	s_cbranch_execz .LBB7_32
; %bb.10:
	v_mov_b32_e32 v10, -1
	s_mov_b32 s1, 0
	s_branch .LBB7_12
.LBB7_11:                               ;   in Loop: Header=BB7_12 Depth=1
	s_or_b32 exec_lo, exec_lo, s6
	v_add_nc_u32_e32 v7, 64, v7
	v_cmp_ge_i32_e32 vcc_lo, v7, v9
	s_or_b32 s1, vcc_lo, s1
	s_andn2_b32 exec_lo, exec_lo, s1
	s_cbranch_execz .LBB7_32
.LBB7_12:                               ; =>This Loop Header: Depth=1
                                        ;     Child Loop BB7_21 Depth 2
	v_ashrrev_i32_e32 v8, 31, v7
	v_mov_b32_e32 v11, 64
	s_mov_b32 s6, 0
                                        ; implicit-def: $sgpr7
                                        ; implicit-def: $sgpr18
                                        ; implicit-def: $sgpr19
	v_lshlrev_b64 v[17:18], 2, v[7:8]
	v_add_co_u32 v17, vcc_lo, s10, v17
	v_add_co_ci_u32_e64 v18, null, s11, v18, vcc_lo
	global_load_dword v8, v[17:18], off
	s_waitcnt vmcnt(0)
	v_mul_lo_u32 v18, v8, 39
	s_branch .LBB7_21
.LBB7_13:                               ;   in Loop: Header=BB7_21 Depth=2
	s_or_b32 exec_lo, exec_lo, s36
	s_orn2_b32 s34, s34, exec_lo
	s_orn2_b32 s35, s35, exec_lo
.LBB7_14:                               ;   in Loop: Header=BB7_21 Depth=2
	s_or_b32 exec_lo, exec_lo, s33
	s_and_b32 s34, s34, exec_lo
	s_orn2_b32 s33, s35, exec_lo
.LBB7_15:                               ;   in Loop: Header=BB7_21 Depth=2
	s_or_b32 exec_lo, exec_lo, s31
	s_orn2_b32 s31, s34, exec_lo
	s_orn2_b32 s33, s33, exec_lo
.LBB7_16:                               ;   in Loop: Header=BB7_21 Depth=2
	s_or_b32 exec_lo, exec_lo, s30
	s_and_b32 s31, s31, exec_lo
	s_orn2_b32 s30, s33, exec_lo
.LBB7_17:                               ;   in Loop: Header=BB7_21 Depth=2
	s_or_b32 exec_lo, exec_lo, s29
	s_orn2_b32 s29, s31, exec_lo
	s_orn2_b32 s30, s30, exec_lo
.LBB7_18:                               ;   in Loop: Header=BB7_21 Depth=2
	s_or_b32 exec_lo, exec_lo, s28
	s_and_b32 s29, s29, exec_lo
	s_orn2_b32 s28, s30, exec_lo
.LBB7_19:                               ;   in Loop: Header=BB7_21 Depth=2
	s_or_b32 exec_lo, exec_lo, s27
	s_andn2_b32 s19, s19, exec_lo
	s_and_b32 s27, s29, exec_lo
	s_andn2_b32 s18, s18, exec_lo
	s_and_b32 s28, s28, exec_lo
	s_or_b32 s19, s19, s27
	s_or_b32 s18, s18, s28
.LBB7_20:                               ;   in Loop: Header=BB7_21 Depth=2
	s_or_b32 exec_lo, exec_lo, s26
	s_and_b32 s26, exec_lo, s18
	s_or_b32 s6, s26, s6
	s_andn2_b32 s7, s7, exec_lo
	s_and_b32 s26, s19, exec_lo
	s_or_b32 s7, s7, s26
	s_andn2_b32 exec_lo, exec_lo, s6
	s_cbranch_execz .LBB7_30
.LBB7_21:                               ;   Parent Loop BB7_12 Depth=1
                                        ; =>  This Inner Loop Header: Depth=2
	v_and_b32_e32 v17, 63, v18
	s_or_b32 s19, s19, exec_lo
	s_or_b32 s18, s18, exec_lo
	s_mov_b32 s26, exec_lo
	v_lshl_add_u32 v19, v17, 2, v15
	ds_read_b32 v20, v19
	s_waitcnt lgkmcnt(0)
	v_cmpx_ne_u32_e64 v20, v8
	s_cbranch_execz .LBB7_20
; %bb.22:                               ;   in Loop: Header=BB7_21 Depth=2
	ds_cmpst_rtn_b32 v19, v19, v10, v8
	s_mov_b32 s28, -1
	s_mov_b32 s29, 0
	s_mov_b32 s27, exec_lo
	s_waitcnt lgkmcnt(0)
	v_cmpx_ne_u32_e32 -1, v19
	s_cbranch_execz .LBB7_19
; %bb.23:                               ;   in Loop: Header=BB7_21 Depth=2
	v_add_nc_u32_e32 v17, 1, v18
	s_mov_b32 s30, -1
	s_mov_b32 s29, -1
	s_mov_b32 s28, exec_lo
	v_and_b32_e32 v17, 63, v17
	v_lshl_add_u32 v19, v17, 2, v15
	ds_read_b32 v20, v19
	s_waitcnt lgkmcnt(0)
	v_cmpx_ne_u32_e64 v20, v8
	s_cbranch_execz .LBB7_18
; %bb.24:                               ;   in Loop: Header=BB7_21 Depth=2
	ds_cmpst_rtn_b32 v19, v19, v10, v8
	s_mov_b32 s31, 0
	s_mov_b32 s29, exec_lo
	s_waitcnt lgkmcnt(0)
	v_cmpx_ne_u32_e32 -1, v19
	s_cbranch_execz .LBB7_17
; %bb.25:                               ;   in Loop: Header=BB7_21 Depth=2
	v_add_nc_u32_e32 v17, 2, v18
	s_mov_b32 s33, -1
	s_mov_b32 s31, -1
	s_mov_b32 s30, exec_lo
	v_and_b32_e32 v17, 63, v17
	v_lshl_add_u32 v19, v17, 2, v15
	ds_read_b32 v20, v19
	s_waitcnt lgkmcnt(0)
	v_cmpx_ne_u32_e64 v20, v8
	s_cbranch_execz .LBB7_16
; %bb.26:                               ;   in Loop: Header=BB7_21 Depth=2
	ds_cmpst_rtn_b32 v19, v19, v10, v8
	s_mov_b32 s34, 0
	s_mov_b32 s31, exec_lo
	s_waitcnt lgkmcnt(0)
	v_cmpx_ne_u32_e32 -1, v19
	s_cbranch_execz .LBB7_15
; %bb.27:                               ;   in Loop: Header=BB7_21 Depth=2
	v_add_nc_u32_e32 v17, 3, v18
	s_mov_b32 s35, -1
	s_mov_b32 s34, -1
	v_and_b32_e32 v17, 63, v17
	v_lshl_add_u32 v19, v17, 2, v15
	ds_read_b32 v18, v19
	s_waitcnt lgkmcnt(0)
	v_cmp_ne_u32_e32 vcc_lo, v18, v8
                                        ; implicit-def: $vgpr18
	s_and_saveexec_b32 s33, vcc_lo
	s_cbranch_execz .LBB7_14
; %bb.28:                               ;   in Loop: Header=BB7_21 Depth=2
	ds_cmpst_rtn_b32 v18, v19, v10, v8
	s_mov_b32 s34, 0
	s_waitcnt lgkmcnt(0)
	v_cmp_ne_u32_e32 vcc_lo, -1, v18
                                        ; implicit-def: $vgpr18
	s_and_saveexec_b32 s36, vcc_lo
	s_cbranch_execz .LBB7_13
; %bb.29:                               ;   in Loop: Header=BB7_21 Depth=2
	v_add_nc_u32_e32 v11, -4, v11
	v_add_nc_u32_e32 v18, 1, v17
	s_mov_b32 s34, exec_lo
	v_cmp_eq_u32_e32 vcc_lo, 0, v11
	s_orn2_b32 s35, vcc_lo, exec_lo
	s_branch .LBB7_13
.LBB7_30:                               ;   in Loop: Header=BB7_12 Depth=1
	s_or_b32 exec_lo, exec_lo, s6
	s_xor_b32 s6, s7, -1
	s_and_saveexec_b32 s7, s6
	s_xor_b32 s6, exec_lo, s7
	s_cbranch_execz .LBB7_11
; %bb.31:                               ;   in Loop: Header=BB7_12 Depth=1
	v_lshl_add_u32 v8, v17, 2, v16
	ds_write_b32 v8, v7
	s_branch .LBB7_11
.LBB7_32:
	s_or_b32 exec_lo, exec_lo, s0
	s_mov_b32 s0, exec_lo
	s_waitcnt vmcnt(0) lgkmcnt(0)
	buffer_gl0_inv
	v_cmpx_lt_i32_e64 v6, v5
	s_cbranch_execz .LBB7_62
; %bb.33:
	v_add_nc_u32_e32 v17, 1, v12
	s_mov_b32 s1, 0
	s_branch .LBB7_36
.LBB7_34:                               ;   in Loop: Header=BB7_36 Depth=1
	s_or_b32 exec_lo, exec_lo, s7
	v_add_nc_u32_e32 v6, 1, v6
	v_cmp_ge_i32_e32 vcc_lo, v6, v5
	s_orn2_b32 s7, vcc_lo, exec_lo
.LBB7_35:                               ;   in Loop: Header=BB7_36 Depth=1
	s_or_b32 exec_lo, exec_lo, s6
	s_and_b32 s6, exec_lo, s7
	s_or_b32 s1, s6, s1
	s_andn2_b32 exec_lo, exec_lo, s1
	s_cbranch_execz .LBB7_62
.LBB7_36:                               ; =>This Loop Header: Depth=1
                                        ;     Child Loop BB7_37 Depth 2
                                        ;     Child Loop BB7_42 Depth 2
                                        ;       Child Loop BB7_51 Depth 3
	v_ashrrev_i32_e32 v7, 31, v6
	s_mov_b32 s6, 0
	v_lshlrev_b64 v[8:9], 2, v[6:7]
	v_add_co_u32 v10, vcc_lo, s10, v8
	v_add_co_ci_u32_e64 v11, null, s11, v9, vcc_lo
	v_add_co_u32 v8, vcc_lo, s12, v8
	v_add_co_ci_u32_e64 v9, null, s13, v9, vcc_lo
	global_load_dword v7, v[10:11], off
	s_waitcnt vmcnt(0)
	v_subrev_nc_u32_e32 v10, s2, v7
	v_ashrrev_i32_e32 v11, 31, v10
	v_lshlrev_b64 v[10:11], 2, v[10:11]
	v_add_co_u32 v20, vcc_lo, s8, v10
	v_add_co_ci_u32_e64 v21, null, s9, v11, vcc_lo
	v_add_co_u32 v22, vcc_lo, s14, v10
	v_add_co_ci_u32_e64 v23, null, s15, v11, vcc_lo
	global_load_dword v19, v[8:9], off
	global_load_dword v7, v[20:21], off offset:4
	global_load_dword v20, v[22:23], off
	v_add_co_u32 v10, vcc_lo, s16, v10
	v_add_co_ci_u32_e64 v11, null, s17, v11, vcc_lo
.LBB7_37:                               ;   Parent Loop BB7_36 Depth=1
                                        ; =>  This Inner Loop Header: Depth=2
	global_load_dword v18, v[10:11], off glc dlc
	s_waitcnt vmcnt(0)
	v_cmp_ne_u32_e32 vcc_lo, 0, v18
	s_or_b32 s6, vcc_lo, s6
	s_andn2_b32 exec_lo, exec_lo, s6
	s_cbranch_execnz .LBB7_37
; %bb.38:                               ;   in Loop: Header=BB7_36 Depth=1
	s_or_b32 exec_lo, exec_lo, s6
	v_subrev_nc_u32_e32 v18, s2, v7
	v_cmp_eq_u32_e32 vcc_lo, -1, v20
	buffer_gl1_inv
	buffer_gl0_inv
	s_mov_b32 s7, -1
	s_mov_b32 s6, exec_lo
	v_add_nc_u32_e32 v7, -1, v18
	v_cndmask_b32_e32 v10, v20, v7, vcc_lo
	v_ashrrev_i32_e32 v11, 31, v10
	v_lshlrev_b64 v[20:21], 2, v[10:11]
	v_add_co_u32 v20, vcc_lo, s12, v20
	v_add_co_ci_u32_e64 v21, null, s13, v21, vcc_lo
	global_load_dword v11, v[20:21], off
	s_waitcnt vmcnt(0)
	v_cmpx_neq_f32_e32 0, v11
	s_cbranch_execz .LBB7_35
; %bb.39:                               ;   in Loop: Header=BB7_36 Depth=1
	v_div_scale_f32 v7, null, v11, v11, v19
	s_mov_b32 s7, exec_lo
	v_rcp_f32_e32 v20, v7
	v_fma_f32 v21, -v7, v20, 1.0
	v_fmac_f32_e32 v20, v21, v20
	v_div_scale_f32 v21, vcc_lo, v19, v11, v19
	v_mul_f32_e32 v22, v21, v20
	v_fma_f32 v23, -v7, v22, v21
	v_fmac_f32_e32 v22, v23, v20
	v_fma_f32 v7, -v7, v22, v21
	v_div_fmas_f32 v20, v7, v20, v22
	v_add_nc_u32_e32 v7, v17, v10
	v_div_fixup_f32 v10, v20, v11, v19
	global_store_dword v[8:9], v10, off
	v_cmpx_lt_i32_e64 v7, v18
	s_cbranch_execz .LBB7_34
; %bb.40:                               ;   in Loop: Header=BB7_36 Depth=1
	s_mov_b32 s18, 0
	s_branch .LBB7_42
.LBB7_41:                               ;   in Loop: Header=BB7_42 Depth=2
	s_or_b32 exec_lo, exec_lo, s19
	v_add_nc_u32_e32 v7, 64, v7
	v_cmp_ge_i32_e32 vcc_lo, v7, v18
	s_or_b32 s18, vcc_lo, s18
	s_andn2_b32 exec_lo, exec_lo, s18
	s_cbranch_execz .LBB7_34
.LBB7_42:                               ;   Parent Loop BB7_36 Depth=1
                                        ; =>  This Loop Header: Depth=2
                                        ;       Child Loop BB7_51 Depth 3
	v_ashrrev_i32_e32 v8, 31, v7
	s_mov_b32 s19, 0
                                        ; implicit-def: $sgpr26
                                        ; implicit-def: $sgpr27
                                        ; implicit-def: $sgpr28
	v_lshlrev_b64 v[8:9], 2, v[7:8]
	v_add_co_u32 v19, vcc_lo, s10, v8
	v_add_co_ci_u32_e64 v20, null, s11, v9, vcc_lo
	global_load_dword v11, v[19:20], off
	v_mov_b32_e32 v19, 64
	s_waitcnt vmcnt(0)
	v_mul_lo_u32 v21, v11, 39
	s_branch .LBB7_51
.LBB7_43:                               ;   in Loop: Header=BB7_51 Depth=3
	s_or_b32 exec_lo, exec_lo, s39
	s_orn2_b32 s37, s37, exec_lo
	s_orn2_b32 s38, s38, exec_lo
.LBB7_44:                               ;   in Loop: Header=BB7_51 Depth=3
	s_or_b32 exec_lo, exec_lo, s36
	s_and_b32 s37, s37, exec_lo
	s_orn2_b32 s36, s38, exec_lo
.LBB7_45:                               ;   in Loop: Header=BB7_51 Depth=3
	s_or_b32 exec_lo, exec_lo, s35
	s_orn2_b32 s35, s37, exec_lo
	s_orn2_b32 s36, s36, exec_lo
.LBB7_46:                               ;   in Loop: Header=BB7_51 Depth=3
	s_or_b32 exec_lo, exec_lo, s34
	s_and_b32 s35, s35, exec_lo
	s_orn2_b32 s34, s36, exec_lo
.LBB7_47:                               ;   in Loop: Header=BB7_51 Depth=3
	s_or_b32 exec_lo, exec_lo, s33
	s_orn2_b32 s33, s35, exec_lo
	s_orn2_b32 s34, s34, exec_lo
.LBB7_48:                               ;   in Loop: Header=BB7_51 Depth=3
	s_or_b32 exec_lo, exec_lo, s31
	s_and_b32 s33, s33, exec_lo
	s_orn2_b32 s31, s34, exec_lo
.LBB7_49:                               ;   in Loop: Header=BB7_51 Depth=3
	s_or_b32 exec_lo, exec_lo, s30
	s_andn2_b32 s28, s28, exec_lo
	s_and_b32 s30, s33, exec_lo
	s_andn2_b32 s27, s27, exec_lo
	s_and_b32 s31, s31, exec_lo
	s_or_b32 s28, s28, s30
	s_or_b32 s27, s27, s31
.LBB7_50:                               ;   in Loop: Header=BB7_51 Depth=3
	s_or_b32 exec_lo, exec_lo, s29
	s_and_b32 s29, exec_lo, s27
	s_or_b32 s19, s29, s19
	s_andn2_b32 s26, s26, exec_lo
	s_and_b32 s29, s28, exec_lo
	s_or_b32 s26, s26, s29
	s_andn2_b32 exec_lo, exec_lo, s19
	s_cbranch_execz .LBB7_60
.LBB7_51:                               ;   Parent Loop BB7_36 Depth=1
                                        ;     Parent Loop BB7_42 Depth=2
                                        ; =>    This Inner Loop Header: Depth=3
	v_and_b32_e32 v20, 63, v21
	s_or_b32 s28, s28, exec_lo
	s_or_b32 s27, s27, exec_lo
	s_mov_b32 s29, exec_lo
	v_lshl_add_u32 v22, v20, 2, v15
	ds_read_b32 v22, v22
	s_waitcnt lgkmcnt(0)
	v_cmpx_ne_u32_e32 -1, v22
	s_cbranch_execz .LBB7_50
; %bb.52:                               ;   in Loop: Header=BB7_51 Depth=3
	s_mov_b32 s31, -1
	s_mov_b32 s33, 0
	s_mov_b32 s30, exec_lo
	v_cmpx_ne_u32_e64 v22, v11
	s_cbranch_execz .LBB7_49
; %bb.53:                               ;   in Loop: Header=BB7_51 Depth=3
	v_add_nc_u32_e32 v20, 1, v21
	s_mov_b32 s34, -1
	s_mov_b32 s33, -1
	s_mov_b32 s31, exec_lo
	v_and_b32_e32 v20, 63, v20
	v_lshl_add_u32 v22, v20, 2, v15
	ds_read_b32 v22, v22
	s_waitcnt lgkmcnt(0)
	v_cmpx_ne_u32_e32 -1, v22
	s_cbranch_execz .LBB7_48
; %bb.54:                               ;   in Loop: Header=BB7_51 Depth=3
	s_mov_b32 s35, 0
	s_mov_b32 s33, exec_lo
	v_cmpx_ne_u32_e64 v22, v11
	s_cbranch_execz .LBB7_47
; %bb.55:                               ;   in Loop: Header=BB7_51 Depth=3
	v_add_nc_u32_e32 v20, 2, v21
	s_mov_b32 s36, -1
	s_mov_b32 s35, -1
	s_mov_b32 s34, exec_lo
	v_and_b32_e32 v20, 63, v20
	v_lshl_add_u32 v22, v20, 2, v15
	ds_read_b32 v22, v22
	s_waitcnt lgkmcnt(0)
	v_cmpx_ne_u32_e32 -1, v22
	s_cbranch_execz .LBB7_46
; %bb.56:                               ;   in Loop: Header=BB7_51 Depth=3
	s_mov_b32 s37, 0
	s_mov_b32 s35, exec_lo
	v_cmpx_ne_u32_e64 v22, v11
	s_cbranch_execz .LBB7_45
; %bb.57:                               ;   in Loop: Header=BB7_51 Depth=3
	v_add_nc_u32_e32 v20, 3, v21
	s_mov_b32 s38, -1
	s_mov_b32 s37, -1
	s_mov_b32 s36, exec_lo
	v_and_b32_e32 v20, 63, v20
	v_lshl_add_u32 v21, v20, 2, v15
	ds_read_b32 v22, v21
                                        ; implicit-def: $vgpr21
	s_waitcnt lgkmcnt(0)
	v_cmpx_ne_u32_e32 -1, v22
	s_cbranch_execz .LBB7_44
; %bb.58:                               ;   in Loop: Header=BB7_51 Depth=3
	s_mov_b32 s37, 0
	s_mov_b32 s39, exec_lo
                                        ; implicit-def: $vgpr21
	v_cmpx_ne_u32_e64 v22, v11
	s_cbranch_execz .LBB7_43
; %bb.59:                               ;   in Loop: Header=BB7_51 Depth=3
	v_add_nc_u32_e32 v19, -4, v19
	v_add_nc_u32_e32 v21, 1, v20
	s_mov_b32 s37, exec_lo
	v_cmp_eq_u32_e32 vcc_lo, 0, v19
	s_orn2_b32 s38, vcc_lo, exec_lo
	s_branch .LBB7_43
.LBB7_60:                               ;   in Loop: Header=BB7_42 Depth=2
	s_or_b32 exec_lo, exec_lo, s19
	s_xor_b32 s19, s26, -1
	s_and_saveexec_b32 s26, s19
	s_xor_b32 s19, exec_lo, s26
	s_cbranch_execz .LBB7_41
; %bb.61:                               ;   in Loop: Header=BB7_42 Depth=2
	v_lshl_add_u32 v11, v20, 2, v16
	v_add_co_u32 v8, vcc_lo, s12, v8
	v_add_co_ci_u32_e64 v9, null, s13, v9, vcc_lo
	ds_read_b32 v19, v11
	s_waitcnt lgkmcnt(0)
	v_ashrrev_i32_e32 v20, 31, v19
	v_lshlrev_b64 v[19:20], 2, v[19:20]
	v_add_co_u32 v19, vcc_lo, s12, v19
	v_add_co_ci_u32_e64 v20, null, s13, v20, vcc_lo
	s_clause 0x1
	global_load_dword v8, v[8:9], off
	global_load_dword v9, v[19:20], off
	s_waitcnt vmcnt(0)
	v_fma_f32 v8, -v10, v8, v9
	global_store_dword v[19:20], v8, off
	s_branch .LBB7_41
.LBB7_62:
	s_or_b32 exec_lo, exec_lo, s0
	s_mov_b32 s6, -1
	s_mov_b32 s1, exec_lo
	s_waitcnt_vscnt null, 0x0
	buffer_gl0_inv
	v_cmpx_lt_i32_e32 -1, v5
	s_cbranch_execz .LBB7_78
; %bb.63:
	v_mov_b32_e32 v6, 0
	v_cmp_eq_u32_e64 s0, 0, v12
	v_lshlrev_b64 v[5:6], 2, v[5:6]
	v_add_co_u32 v7, vcc_lo, s12, v5
	v_add_co_ci_u32_e64 v8, null, s13, v6, vcc_lo
	global_load_dword v9, v[7:8], off
	s_waitcnt vmcnt(0)
	v_cmp_gt_f32_e32 vcc_lo, 0, v9
	v_cndmask_b32_e64 v5, v9, -v9, vcc_lo
	s_andn2_b32 vcc_lo, exec_lo, s3
	v_cvt_f64_f32_e32 v[5:6], v5
	s_cbranch_vccnz .LBB7_67
; %bb.64:
	v_cvt_f64_f32_e32 v[10:11], v13
	s_cmp_eq_u64 s[24:25], 8
	s_cselect_b32 vcc_lo, -1, 0
	v_cndmask_b32_e32 v3, v11, v3, vcc_lo
	v_cndmask_b32_e32 v2, v10, v2, vcc_lo
	v_cmp_ge_f64_e32 vcc_lo, v[2:3], v[5:6]
	s_and_b32 s6, s0, vcc_lo
	s_and_saveexec_b32 s3, s6
	s_cbranch_execz .LBB7_66
; %bb.65:
	global_store_dword v[7:8], v14, off
	s_waitcnt_vscnt null, 0x0
	buffer_gl1_inv
	buffer_gl0_inv
.LBB7_66:
	s_or_b32 exec_lo, exec_lo, s3
	s_mov_b32 s6, 0
.LBB7_67:
	s_andn2_b32 vcc_lo, exec_lo, s6
	s_cbranch_vccnz .LBB7_78
; %bb.68:
	s_load_dwordx2 s[4:5], s[4:5], 0x48
	v_add_nc_u32_e32 v2, s2, v4
	s_waitcnt lgkmcnt(0)
	v_cmp_ge_f64_e32 vcc_lo, s[4:5], v[5:6]
	s_and_b32 s3, s0, vcc_lo
	s_and_saveexec_b32 s2, s3
	s_cbranch_execz .LBB7_73
; %bb.69:
	s_mov_b32 s4, exec_lo
	s_brev_b32 s3, -2
.LBB7_70:                               ; =>This Inner Loop Header: Depth=1
	s_ff1_i32_b32 s5, s4
	v_readlane_b32 s6, v2, s5
	s_lshl_b32 s5, 1, s5
	s_andn2_b32 s4, s4, s5
	s_min_i32 s3, s3, s6
	s_cmp_lg_u32 s4, 0
	s_cbranch_scc1 .LBB7_70
; %bb.71:
	v_mbcnt_lo_u32_b32 v3, exec_lo, 0
	s_mov_b32 s4, exec_lo
	v_cmpx_eq_u32_e32 0, v3
	s_xor_b32 s4, exec_lo, s4
	s_cbranch_execz .LBB7_73
; %bb.72:
	v_mov_b32_e32 v3, 0
	v_mov_b32_e32 v4, s3
	global_atomic_smin v3, v4, s[22:23]
.LBB7_73:
	s_or_b32 exec_lo, exec_lo, s2
	v_cmp_eq_f32_e32 vcc_lo, 0, v9
	s_and_b32 s0, s0, vcc_lo
	s_and_b32 exec_lo, exec_lo, s0
	s_cbranch_execz .LBB7_78
; %bb.74:
	s_mov_b32 s2, exec_lo
	s_brev_b32 s0, -2
.LBB7_75:                               ; =>This Inner Loop Header: Depth=1
	s_ff1_i32_b32 s3, s2
	v_readlane_b32 s4, v2, s3
	s_lshl_b32 s3, 1, s3
	s_andn2_b32 s2, s2, s3
	s_min_i32 s0, s0, s4
	s_cmp_lg_u32 s2, 0
	s_cbranch_scc1 .LBB7_75
; %bb.76:
	v_mbcnt_lo_u32_b32 v2, exec_lo, 0
	s_mov_b32 s2, exec_lo
	v_cmpx_eq_u32_e32 0, v2
	s_xor_b32 s2, exec_lo, s2
	s_cbranch_execz .LBB7_78
; %bb.77:
	v_mov_b32_e32 v2, 0
	v_mov_b32_e32 v3, s0
	global_atomic_smin v2, v3, s[20:21]
.LBB7_78:
	s_or_b32 exec_lo, exec_lo, s1
	v_cmp_eq_u32_e32 vcc_lo, 0, v12
	s_waitcnt_vscnt null, 0x0
	buffer_gl1_inv
	buffer_gl0_inv
	s_and_b32 exec_lo, exec_lo, vcc_lo
	s_cbranch_execz .LBB7_80
; %bb.79:
	v_add_co_u32 v0, vcc_lo, s16, v0
	v_add_co_ci_u32_e64 v1, null, s17, v1, vcc_lo
	v_mov_b32_e32 v2, 1
	global_store_dword v[0:1], v2, off
.LBB7_80:
	s_endpgm
	.section	.rodata,"a",@progbits
	.p2align	6, 0x0
	.amdhsa_kernel _ZN9rocsparseL12csrilu0_hashILj256ELj64ELj1EfEEviPKiS2_PT2_S2_PiS2_S5_S5_d21rocsparse_index_base_imNS_24const_host_device_scalarIfEENS7_IdEENS7_IS3_EEb
		.amdhsa_group_segment_fixed_size 2048
		.amdhsa_private_segment_fixed_size 0
		.amdhsa_kernarg_size 124
		.amdhsa_user_sgpr_count 6
		.amdhsa_user_sgpr_private_segment_buffer 1
		.amdhsa_user_sgpr_dispatch_ptr 0
		.amdhsa_user_sgpr_queue_ptr 0
		.amdhsa_user_sgpr_kernarg_segment_ptr 1
		.amdhsa_user_sgpr_dispatch_id 0
		.amdhsa_user_sgpr_flat_scratch_init 0
		.amdhsa_user_sgpr_private_segment_size 0
		.amdhsa_wavefront_size32 1
		.amdhsa_uses_dynamic_stack 0
		.amdhsa_system_sgpr_private_segment_wavefront_offset 0
		.amdhsa_system_sgpr_workgroup_id_x 1
		.amdhsa_system_sgpr_workgroup_id_y 0
		.amdhsa_system_sgpr_workgroup_id_z 0
		.amdhsa_system_sgpr_workgroup_info 0
		.amdhsa_system_vgpr_workitem_id 0
		.amdhsa_next_free_vgpr 24
		.amdhsa_next_free_sgpr 40
		.amdhsa_reserve_vcc 1
		.amdhsa_reserve_flat_scratch 0
		.amdhsa_float_round_mode_32 0
		.amdhsa_float_round_mode_16_64 0
		.amdhsa_float_denorm_mode_32 3
		.amdhsa_float_denorm_mode_16_64 3
		.amdhsa_dx10_clamp 1
		.amdhsa_ieee_mode 1
		.amdhsa_fp16_overflow 0
		.amdhsa_workgroup_processor_mode 1
		.amdhsa_memory_ordered 1
		.amdhsa_forward_progress 1
		.amdhsa_shared_vgpr_count 0
		.amdhsa_exception_fp_ieee_invalid_op 0
		.amdhsa_exception_fp_denorm_src 0
		.amdhsa_exception_fp_ieee_div_zero 0
		.amdhsa_exception_fp_ieee_overflow 0
		.amdhsa_exception_fp_ieee_underflow 0
		.amdhsa_exception_fp_ieee_inexact 0
		.amdhsa_exception_int_div_zero 0
	.end_amdhsa_kernel
	.section	.text._ZN9rocsparseL12csrilu0_hashILj256ELj64ELj1EfEEviPKiS2_PT2_S2_PiS2_S5_S5_d21rocsparse_index_base_imNS_24const_host_device_scalarIfEENS7_IdEENS7_IS3_EEb,"axG",@progbits,_ZN9rocsparseL12csrilu0_hashILj256ELj64ELj1EfEEviPKiS2_PT2_S2_PiS2_S5_S5_d21rocsparse_index_base_imNS_24const_host_device_scalarIfEENS7_IdEENS7_IS3_EEb,comdat
.Lfunc_end7:
	.size	_ZN9rocsparseL12csrilu0_hashILj256ELj64ELj1EfEEviPKiS2_PT2_S2_PiS2_S5_S5_d21rocsparse_index_base_imNS_24const_host_device_scalarIfEENS7_IdEENS7_IS3_EEb, .Lfunc_end7-_ZN9rocsparseL12csrilu0_hashILj256ELj64ELj1EfEEviPKiS2_PT2_S2_PiS2_S5_S5_d21rocsparse_index_base_imNS_24const_host_device_scalarIfEENS7_IdEENS7_IS3_EEb
                                        ; -- End function
	.set _ZN9rocsparseL12csrilu0_hashILj256ELj64ELj1EfEEviPKiS2_PT2_S2_PiS2_S5_S5_d21rocsparse_index_base_imNS_24const_host_device_scalarIfEENS7_IdEENS7_IS3_EEb.num_vgpr, 24
	.set _ZN9rocsparseL12csrilu0_hashILj256ELj64ELj1EfEEviPKiS2_PT2_S2_PiS2_S5_S5_d21rocsparse_index_base_imNS_24const_host_device_scalarIfEENS7_IdEENS7_IS3_EEb.num_agpr, 0
	.set _ZN9rocsparseL12csrilu0_hashILj256ELj64ELj1EfEEviPKiS2_PT2_S2_PiS2_S5_S5_d21rocsparse_index_base_imNS_24const_host_device_scalarIfEENS7_IdEENS7_IS3_EEb.numbered_sgpr, 40
	.set _ZN9rocsparseL12csrilu0_hashILj256ELj64ELj1EfEEviPKiS2_PT2_S2_PiS2_S5_S5_d21rocsparse_index_base_imNS_24const_host_device_scalarIfEENS7_IdEENS7_IS3_EEb.num_named_barrier, 0
	.set _ZN9rocsparseL12csrilu0_hashILj256ELj64ELj1EfEEviPKiS2_PT2_S2_PiS2_S5_S5_d21rocsparse_index_base_imNS_24const_host_device_scalarIfEENS7_IdEENS7_IS3_EEb.private_seg_size, 0
	.set _ZN9rocsparseL12csrilu0_hashILj256ELj64ELj1EfEEviPKiS2_PT2_S2_PiS2_S5_S5_d21rocsparse_index_base_imNS_24const_host_device_scalarIfEENS7_IdEENS7_IS3_EEb.uses_vcc, 1
	.set _ZN9rocsparseL12csrilu0_hashILj256ELj64ELj1EfEEviPKiS2_PT2_S2_PiS2_S5_S5_d21rocsparse_index_base_imNS_24const_host_device_scalarIfEENS7_IdEENS7_IS3_EEb.uses_flat_scratch, 0
	.set _ZN9rocsparseL12csrilu0_hashILj256ELj64ELj1EfEEviPKiS2_PT2_S2_PiS2_S5_S5_d21rocsparse_index_base_imNS_24const_host_device_scalarIfEENS7_IdEENS7_IS3_EEb.has_dyn_sized_stack, 0
	.set _ZN9rocsparseL12csrilu0_hashILj256ELj64ELj1EfEEviPKiS2_PT2_S2_PiS2_S5_S5_d21rocsparse_index_base_imNS_24const_host_device_scalarIfEENS7_IdEENS7_IS3_EEb.has_recursion, 0
	.set _ZN9rocsparseL12csrilu0_hashILj256ELj64ELj1EfEEviPKiS2_PT2_S2_PiS2_S5_S5_d21rocsparse_index_base_imNS_24const_host_device_scalarIfEENS7_IdEENS7_IS3_EEb.has_indirect_call, 0
	.section	.AMDGPU.csdata,"",@progbits
; Kernel info:
; codeLenInByte = 2580
; TotalNumSgprs: 42
; NumVgprs: 24
; ScratchSize: 0
; MemoryBound: 0
; FloatMode: 240
; IeeeMode: 1
; LDSByteSize: 2048 bytes/workgroup (compile time only)
; SGPRBlocks: 0
; VGPRBlocks: 2
; NumSGPRsForWavesPerEU: 42
; NumVGPRsForWavesPerEU: 24
; Occupancy: 16
; WaveLimiterHint : 1
; COMPUTE_PGM_RSRC2:SCRATCH_EN: 0
; COMPUTE_PGM_RSRC2:USER_SGPR: 6
; COMPUTE_PGM_RSRC2:TRAP_HANDLER: 0
; COMPUTE_PGM_RSRC2:TGID_X_EN: 1
; COMPUTE_PGM_RSRC2:TGID_Y_EN: 0
; COMPUTE_PGM_RSRC2:TGID_Z_EN: 0
; COMPUTE_PGM_RSRC2:TIDIG_COMP_CNT: 0
	.section	.text._ZN9rocsparseL12csrilu0_hashILj256ELj64ELj2EfEEviPKiS2_PT2_S2_PiS2_S5_S5_d21rocsparse_index_base_imNS_24const_host_device_scalarIfEENS7_IdEENS7_IS3_EEb,"axG",@progbits,_ZN9rocsparseL12csrilu0_hashILj256ELj64ELj2EfEEviPKiS2_PT2_S2_PiS2_S5_S5_d21rocsparse_index_base_imNS_24const_host_device_scalarIfEENS7_IdEENS7_IS3_EEb,comdat
	.globl	_ZN9rocsparseL12csrilu0_hashILj256ELj64ELj2EfEEviPKiS2_PT2_S2_PiS2_S5_S5_d21rocsparse_index_base_imNS_24const_host_device_scalarIfEENS7_IdEENS7_IS3_EEb ; -- Begin function _ZN9rocsparseL12csrilu0_hashILj256ELj64ELj2EfEEviPKiS2_PT2_S2_PiS2_S5_S5_d21rocsparse_index_base_imNS_24const_host_device_scalarIfEENS7_IdEENS7_IS3_EEb
	.p2align	8
	.type	_ZN9rocsparseL12csrilu0_hashILj256ELj64ELj2EfEEviPKiS2_PT2_S2_PiS2_S5_S5_d21rocsparse_index_base_imNS_24const_host_device_scalarIfEENS7_IdEENS7_IS3_EEb,@function
_ZN9rocsparseL12csrilu0_hashILj256ELj64ELj2EfEEviPKiS2_PT2_S2_PiS2_S5_S5_d21rocsparse_index_base_imNS_24const_host_device_scalarIfEENS7_IdEENS7_IS3_EEb: ; @_ZN9rocsparseL12csrilu0_hashILj256ELj64ELj2EfEEviPKiS2_PT2_S2_PiS2_S5_S5_d21rocsparse_index_base_imNS_24const_host_device_scalarIfEENS7_IdEENS7_IS3_EEb
; %bb.0:
	s_clause 0x2
	s_load_dword s0, s[4:5], 0x78
	s_load_dwordx2 s[2:3], s[4:5], 0x50
	s_load_dwordx8 s[24:31], s[4:5], 0x58
	s_waitcnt lgkmcnt(0)
	s_bitcmp1_b32 s0, 0
	s_cselect_b32 s0, -1, 0
	s_cmp_eq_u32 s3, 0
	s_cselect_b32 s7, -1, 0
	s_cmp_lg_u32 s3, 0
	s_cselect_b32 s3, -1, 0
	s_or_b32 s9, s7, s0
	s_xor_b32 s8, s9, -1
	s_and_b32 s0, s7, exec_lo
	s_cselect_b32 s1, 0, s29
	s_cselect_b32 s0, 0, s28
	s_and_b32 vcc_lo, exec_lo, s9
	s_cbranch_vccnz .LBB8_2
; %bb.1:
	s_load_dword s0, s[26:27], 0x0
	s_waitcnt lgkmcnt(0)
	v_mov_b32_e32 v14, s0
	s_mov_b64 s[0:1], s[28:29]
	s_branch .LBB8_3
.LBB8_2:
	v_cndmask_b32_e64 v14, s26, 0, s7
.LBB8_3:
	v_mov_b32_e32 v4, s1
	v_cndmask_b32_e64 v1, 0, 1, s8
	v_mov_b32_e32 v3, s0
	s_andn2_b32 vcc_lo, exec_lo, s8
	s_cbranch_vccnz .LBB8_5
; %bb.4:
	v_mov_b32_e32 v2, s28
	v_mov_b32_e32 v3, s29
	flat_load_dwordx2 v[3:4], v[2:3]
.LBB8_5:
	v_cmp_ne_u32_e32 vcc_lo, 1, v1
	s_mov_b32 s0, 0
	s_cbranch_vccnz .LBB8_7
; %bb.6:
	s_load_dword s1, s[30:31], 0x0
	s_waitcnt lgkmcnt(0)
	v_mov_b32_e32 v15, s1
	s_branch .LBB8_8
.LBB8_7:
	v_cndmask_b32_e64 v15, s30, 0, s7
.LBB8_8:
	v_lshrrev_b32_e32 v1, 6, v0
	v_and_b32_e32 v13, 63, v0
	v_lshlrev_b32_e32 v5, 9, v1
	v_lshlrev_b32_e32 v6, 2, v13
	v_or_b32_e32 v2, 0xffffffc0, v13
	v_or3_b32 v5, v5, v6, 0x800
	v_mov_b32_e32 v6, -1
.LBB8_9:                                ; =>This Inner Loop Header: Depth=1
	v_add_co_u32 v2, s1, v2, 64
	s_xor_b32 s1, s1, -1
	ds_write_b32 v5, v6
	v_add_nc_u32_e32 v5, 0x100, v5
	s_and_b32 s1, exec_lo, s1
	s_or_b32 s0, s1, s0
	s_andn2_b32 exec_lo, exec_lo, s0
	s_cbranch_execnz .LBB8_9
; %bb.10:
	s_or_b32 exec_lo, exec_lo, s0
	s_load_dword s0, s[4:5], 0x0
	s_lshl_b32 s1, s6, 2
	s_waitcnt vmcnt(0) lgkmcnt(0)
	buffer_gl0_inv
	v_and_or_b32 v1, 0x3fffffc, s1, v1
	v_cmp_gt_i32_e32 vcc_lo, s0, v1
	s_and_saveexec_b32 s0, vcc_lo
	s_cbranch_execz .LBB8_82
; %bb.11:
	s_load_dwordx16 s[8:23], s[4:5], 0x8
	v_lshlrev_b32_e32 v1, 2, v1
	v_lshlrev_b32_e32 v0, 3, v0
	s_mov_b32 s0, exec_lo
	v_and_b32_e32 v0, 0x600, v0
	v_or_b32_e32 v16, 0x800, v0
	s_waitcnt lgkmcnt(0)
	global_load_dword v5, v1, s[18:19]
	s_waitcnt vmcnt(0)
	v_ashrrev_i32_e32 v6, 31, v5
	v_lshlrev_b64 v[1:2], 2, v[5:6]
	v_add_co_u32 v6, vcc_lo, s8, v1
	v_add_co_ci_u32_e64 v7, null, s9, v2, vcc_lo
	v_add_co_u32 v9, vcc_lo, s14, v1
	v_add_co_ci_u32_e64 v10, null, s15, v2, vcc_lo
	global_load_dwordx2 v[7:8], v[6:7], off
	global_load_dword v6, v[9:10], off
	s_waitcnt vmcnt(1)
	v_subrev_nc_u32_e32 v7, s2, v7
	v_subrev_nc_u32_e32 v10, s2, v8
	v_add_nc_u32_e32 v8, v7, v13
	v_cmpx_lt_i32_e64 v8, v10
	s_cbranch_execz .LBB8_34
; %bb.12:
	v_mov_b32_e32 v11, -1
	s_mov_b32 s1, 0
	s_branch .LBB8_14
.LBB8_13:                               ;   in Loop: Header=BB8_14 Depth=1
	s_or_b32 exec_lo, exec_lo, s6
	v_add_nc_u32_e32 v8, 64, v8
	v_cmp_ge_i32_e32 vcc_lo, v8, v10
	s_or_b32 s1, vcc_lo, s1
	s_andn2_b32 exec_lo, exec_lo, s1
	s_cbranch_execz .LBB8_34
.LBB8_14:                               ; =>This Loop Header: Depth=1
                                        ;     Child Loop BB8_23 Depth 2
	v_ashrrev_i32_e32 v9, 31, v8
	v_mov_b32_e32 v12, 0x80
	s_mov_b32 s6, 0
                                        ; implicit-def: $sgpr7
                                        ; implicit-def: $sgpr18
                                        ; implicit-def: $sgpr19
	v_lshlrev_b64 v[17:18], 2, v[8:9]
	v_add_co_u32 v17, vcc_lo, s10, v17
	v_add_co_ci_u32_e64 v18, null, s11, v18, vcc_lo
	global_load_dword v9, v[17:18], off
	s_waitcnt vmcnt(0)
	v_mul_lo_u32 v18, 0x67, v9
	s_branch .LBB8_23
.LBB8_15:                               ;   in Loop: Header=BB8_23 Depth=2
	s_or_b32 exec_lo, exec_lo, s36
	s_orn2_b32 s34, s34, exec_lo
	s_orn2_b32 s35, s35, exec_lo
.LBB8_16:                               ;   in Loop: Header=BB8_23 Depth=2
	s_or_b32 exec_lo, exec_lo, s33
	s_and_b32 s34, s34, exec_lo
	s_orn2_b32 s33, s35, exec_lo
.LBB8_17:                               ;   in Loop: Header=BB8_23 Depth=2
	s_or_b32 exec_lo, exec_lo, s31
	s_orn2_b32 s31, s34, exec_lo
	s_orn2_b32 s33, s33, exec_lo
.LBB8_18:                               ;   in Loop: Header=BB8_23 Depth=2
	s_or_b32 exec_lo, exec_lo, s30
	s_and_b32 s31, s31, exec_lo
	s_orn2_b32 s30, s33, exec_lo
.LBB8_19:                               ;   in Loop: Header=BB8_23 Depth=2
	s_or_b32 exec_lo, exec_lo, s29
	s_orn2_b32 s29, s31, exec_lo
	s_orn2_b32 s30, s30, exec_lo
.LBB8_20:                               ;   in Loop: Header=BB8_23 Depth=2
	s_or_b32 exec_lo, exec_lo, s28
	s_and_b32 s29, s29, exec_lo
	s_orn2_b32 s28, s30, exec_lo
.LBB8_21:                               ;   in Loop: Header=BB8_23 Depth=2
	s_or_b32 exec_lo, exec_lo, s27
	s_andn2_b32 s19, s19, exec_lo
	s_and_b32 s27, s29, exec_lo
	s_andn2_b32 s18, s18, exec_lo
	s_and_b32 s28, s28, exec_lo
	s_or_b32 s19, s19, s27
	s_or_b32 s18, s18, s28
.LBB8_22:                               ;   in Loop: Header=BB8_23 Depth=2
	s_or_b32 exec_lo, exec_lo, s26
	s_and_b32 s26, exec_lo, s18
	s_or_b32 s6, s26, s6
	s_andn2_b32 s7, s7, exec_lo
	s_and_b32 s26, s19, exec_lo
	s_or_b32 s7, s7, s26
	s_andn2_b32 exec_lo, exec_lo, s6
	s_cbranch_execz .LBB8_32
.LBB8_23:                               ;   Parent Loop BB8_14 Depth=1
                                        ; =>  This Inner Loop Header: Depth=2
	v_and_b32_e32 v17, 0x7f, v18
	s_or_b32 s19, s19, exec_lo
	s_or_b32 s18, s18, exec_lo
	s_mov_b32 s26, exec_lo
	v_lshl_add_u32 v19, v17, 2, v16
	ds_read_b32 v20, v19
	s_waitcnt lgkmcnt(0)
	v_cmpx_ne_u32_e64 v20, v9
	s_cbranch_execz .LBB8_22
; %bb.24:                               ;   in Loop: Header=BB8_23 Depth=2
	ds_cmpst_rtn_b32 v19, v19, v11, v9
	s_mov_b32 s28, -1
	s_mov_b32 s29, 0
	s_mov_b32 s27, exec_lo
	s_waitcnt lgkmcnt(0)
	v_cmpx_ne_u32_e32 -1, v19
	s_cbranch_execz .LBB8_21
; %bb.25:                               ;   in Loop: Header=BB8_23 Depth=2
	v_add_nc_u32_e32 v17, 1, v18
	s_mov_b32 s30, -1
	s_mov_b32 s29, -1
	s_mov_b32 s28, exec_lo
	v_and_b32_e32 v17, 0x7f, v17
	v_lshl_add_u32 v19, v17, 2, v16
	ds_read_b32 v20, v19
	s_waitcnt lgkmcnt(0)
	v_cmpx_ne_u32_e64 v20, v9
	s_cbranch_execz .LBB8_20
; %bb.26:                               ;   in Loop: Header=BB8_23 Depth=2
	ds_cmpst_rtn_b32 v19, v19, v11, v9
	s_mov_b32 s31, 0
	s_mov_b32 s29, exec_lo
	s_waitcnt lgkmcnt(0)
	v_cmpx_ne_u32_e32 -1, v19
	s_cbranch_execz .LBB8_19
; %bb.27:                               ;   in Loop: Header=BB8_23 Depth=2
	v_add_nc_u32_e32 v17, 2, v18
	s_mov_b32 s33, -1
	s_mov_b32 s31, -1
	s_mov_b32 s30, exec_lo
	v_and_b32_e32 v17, 0x7f, v17
	v_lshl_add_u32 v19, v17, 2, v16
	ds_read_b32 v20, v19
	s_waitcnt lgkmcnt(0)
	v_cmpx_ne_u32_e64 v20, v9
	s_cbranch_execz .LBB8_18
; %bb.28:                               ;   in Loop: Header=BB8_23 Depth=2
	ds_cmpst_rtn_b32 v19, v19, v11, v9
	s_mov_b32 s34, 0
	s_mov_b32 s31, exec_lo
	s_waitcnt lgkmcnt(0)
	v_cmpx_ne_u32_e32 -1, v19
	s_cbranch_execz .LBB8_17
; %bb.29:                               ;   in Loop: Header=BB8_23 Depth=2
	v_add_nc_u32_e32 v17, 3, v18
	s_mov_b32 s35, -1
	s_mov_b32 s34, -1
	v_and_b32_e32 v17, 0x7f, v17
	v_lshl_add_u32 v19, v17, 2, v16
	ds_read_b32 v18, v19
	s_waitcnt lgkmcnt(0)
	v_cmp_ne_u32_e32 vcc_lo, v18, v9
                                        ; implicit-def: $vgpr18
	s_and_saveexec_b32 s33, vcc_lo
	s_cbranch_execz .LBB8_16
; %bb.30:                               ;   in Loop: Header=BB8_23 Depth=2
	ds_cmpst_rtn_b32 v18, v19, v11, v9
	s_mov_b32 s34, 0
	s_waitcnt lgkmcnt(0)
	v_cmp_ne_u32_e32 vcc_lo, -1, v18
                                        ; implicit-def: $vgpr18
	s_and_saveexec_b32 s36, vcc_lo
	s_cbranch_execz .LBB8_15
; %bb.31:                               ;   in Loop: Header=BB8_23 Depth=2
	v_add_nc_u32_e32 v12, -4, v12
	v_add_nc_u32_e32 v18, 1, v17
	s_mov_b32 s34, exec_lo
	v_cmp_eq_u32_e32 vcc_lo, 0, v12
	s_orn2_b32 s35, vcc_lo, exec_lo
	s_branch .LBB8_15
.LBB8_32:                               ;   in Loop: Header=BB8_14 Depth=1
	s_or_b32 exec_lo, exec_lo, s6
	s_xor_b32 s6, s7, -1
	s_and_saveexec_b32 s7, s6
	s_xor_b32 s6, exec_lo, s7
	s_cbranch_execz .LBB8_13
; %bb.33:                               ;   in Loop: Header=BB8_14 Depth=1
	v_lshl_add_u32 v9, v17, 2, v0
	ds_write_b32 v9, v8
	s_branch .LBB8_13
.LBB8_34:
	s_or_b32 exec_lo, exec_lo, s0
	s_mov_b32 s0, exec_lo
	s_waitcnt vmcnt(0) lgkmcnt(0)
	buffer_gl0_inv
	v_cmpx_lt_i32_e64 v7, v6
	s_cbranch_execz .LBB8_64
; %bb.35:
	v_add_nc_u32_e32 v17, 1, v13
	s_mov_b32 s1, 0
	s_branch .LBB8_38
.LBB8_36:                               ;   in Loop: Header=BB8_38 Depth=1
	s_or_b32 exec_lo, exec_lo, s7
	v_add_nc_u32_e32 v7, 1, v7
	v_cmp_ge_i32_e32 vcc_lo, v7, v6
	s_orn2_b32 s7, vcc_lo, exec_lo
.LBB8_37:                               ;   in Loop: Header=BB8_38 Depth=1
	s_or_b32 exec_lo, exec_lo, s6
	s_and_b32 s6, exec_lo, s7
	s_or_b32 s1, s6, s1
	s_andn2_b32 exec_lo, exec_lo, s1
	s_cbranch_execz .LBB8_64
.LBB8_38:                               ; =>This Loop Header: Depth=1
                                        ;     Child Loop BB8_39 Depth 2
                                        ;     Child Loop BB8_44 Depth 2
                                        ;       Child Loop BB8_53 Depth 3
	v_ashrrev_i32_e32 v8, 31, v7
	s_mov_b32 s6, 0
	v_lshlrev_b64 v[9:10], 2, v[7:8]
	v_add_co_u32 v11, vcc_lo, s10, v9
	v_add_co_ci_u32_e64 v12, null, s11, v10, vcc_lo
	v_add_co_u32 v9, vcc_lo, s12, v9
	v_add_co_ci_u32_e64 v10, null, s13, v10, vcc_lo
	global_load_dword v8, v[11:12], off
	s_waitcnt vmcnt(0)
	v_subrev_nc_u32_e32 v11, s2, v8
	v_ashrrev_i32_e32 v12, 31, v11
	v_lshlrev_b64 v[11:12], 2, v[11:12]
	v_add_co_u32 v20, vcc_lo, s8, v11
	v_add_co_ci_u32_e64 v21, null, s9, v12, vcc_lo
	v_add_co_u32 v22, vcc_lo, s14, v11
	v_add_co_ci_u32_e64 v23, null, s15, v12, vcc_lo
	global_load_dword v19, v[9:10], off
	global_load_dword v8, v[20:21], off offset:4
	global_load_dword v20, v[22:23], off
	v_add_co_u32 v11, vcc_lo, s16, v11
	v_add_co_ci_u32_e64 v12, null, s17, v12, vcc_lo
.LBB8_39:                               ;   Parent Loop BB8_38 Depth=1
                                        ; =>  This Inner Loop Header: Depth=2
	global_load_dword v18, v[11:12], off glc dlc
	s_waitcnt vmcnt(0)
	v_cmp_ne_u32_e32 vcc_lo, 0, v18
	s_or_b32 s6, vcc_lo, s6
	s_andn2_b32 exec_lo, exec_lo, s6
	s_cbranch_execnz .LBB8_39
; %bb.40:                               ;   in Loop: Header=BB8_38 Depth=1
	s_or_b32 exec_lo, exec_lo, s6
	v_subrev_nc_u32_e32 v18, s2, v8
	v_cmp_eq_u32_e32 vcc_lo, -1, v20
	buffer_gl1_inv
	buffer_gl0_inv
	s_mov_b32 s7, -1
	s_mov_b32 s6, exec_lo
	v_add_nc_u32_e32 v8, -1, v18
	v_cndmask_b32_e32 v11, v20, v8, vcc_lo
	v_ashrrev_i32_e32 v12, 31, v11
	v_lshlrev_b64 v[20:21], 2, v[11:12]
	v_add_co_u32 v20, vcc_lo, s12, v20
	v_add_co_ci_u32_e64 v21, null, s13, v21, vcc_lo
	global_load_dword v12, v[20:21], off
	s_waitcnt vmcnt(0)
	v_cmpx_neq_f32_e32 0, v12
	s_cbranch_execz .LBB8_37
; %bb.41:                               ;   in Loop: Header=BB8_38 Depth=1
	v_div_scale_f32 v8, null, v12, v12, v19
	s_mov_b32 s7, exec_lo
	v_rcp_f32_e32 v20, v8
	v_fma_f32 v21, -v8, v20, 1.0
	v_fmac_f32_e32 v20, v21, v20
	v_div_scale_f32 v21, vcc_lo, v19, v12, v19
	v_mul_f32_e32 v22, v21, v20
	v_fma_f32 v23, -v8, v22, v21
	v_fmac_f32_e32 v22, v23, v20
	v_fma_f32 v8, -v8, v22, v21
	v_div_fmas_f32 v20, v8, v20, v22
	v_add_nc_u32_e32 v8, v17, v11
	v_div_fixup_f32 v11, v20, v12, v19
	global_store_dword v[9:10], v11, off
	v_cmpx_lt_i32_e64 v8, v18
	s_cbranch_execz .LBB8_36
; %bb.42:                               ;   in Loop: Header=BB8_38 Depth=1
	s_mov_b32 s18, 0
	s_branch .LBB8_44
.LBB8_43:                               ;   in Loop: Header=BB8_44 Depth=2
	s_or_b32 exec_lo, exec_lo, s19
	v_add_nc_u32_e32 v8, 64, v8
	v_cmp_ge_i32_e32 vcc_lo, v8, v18
	s_or_b32 s18, vcc_lo, s18
	s_andn2_b32 exec_lo, exec_lo, s18
	s_cbranch_execz .LBB8_36
.LBB8_44:                               ;   Parent Loop BB8_38 Depth=1
                                        ; =>  This Loop Header: Depth=2
                                        ;       Child Loop BB8_53 Depth 3
	v_ashrrev_i32_e32 v9, 31, v8
	s_mov_b32 s19, 0
                                        ; implicit-def: $sgpr26
                                        ; implicit-def: $sgpr27
                                        ; implicit-def: $sgpr28
	v_lshlrev_b64 v[9:10], 2, v[8:9]
	v_add_co_u32 v19, vcc_lo, s10, v9
	v_add_co_ci_u32_e64 v20, null, s11, v10, vcc_lo
	global_load_dword v12, v[19:20], off
	v_mov_b32_e32 v19, 0x80
	s_waitcnt vmcnt(0)
	v_mul_lo_u32 v21, 0x67, v12
	s_branch .LBB8_53
.LBB8_45:                               ;   in Loop: Header=BB8_53 Depth=3
	s_or_b32 exec_lo, exec_lo, s39
	s_orn2_b32 s37, s37, exec_lo
	s_orn2_b32 s38, s38, exec_lo
.LBB8_46:                               ;   in Loop: Header=BB8_53 Depth=3
	s_or_b32 exec_lo, exec_lo, s36
	s_and_b32 s37, s37, exec_lo
	s_orn2_b32 s36, s38, exec_lo
.LBB8_47:                               ;   in Loop: Header=BB8_53 Depth=3
	s_or_b32 exec_lo, exec_lo, s35
	s_orn2_b32 s35, s37, exec_lo
	s_orn2_b32 s36, s36, exec_lo
.LBB8_48:                               ;   in Loop: Header=BB8_53 Depth=3
	s_or_b32 exec_lo, exec_lo, s34
	s_and_b32 s35, s35, exec_lo
	s_orn2_b32 s34, s36, exec_lo
.LBB8_49:                               ;   in Loop: Header=BB8_53 Depth=3
	s_or_b32 exec_lo, exec_lo, s33
	s_orn2_b32 s33, s35, exec_lo
	s_orn2_b32 s34, s34, exec_lo
.LBB8_50:                               ;   in Loop: Header=BB8_53 Depth=3
	s_or_b32 exec_lo, exec_lo, s31
	s_and_b32 s33, s33, exec_lo
	s_orn2_b32 s31, s34, exec_lo
.LBB8_51:                               ;   in Loop: Header=BB8_53 Depth=3
	s_or_b32 exec_lo, exec_lo, s30
	s_andn2_b32 s28, s28, exec_lo
	s_and_b32 s30, s33, exec_lo
	s_andn2_b32 s27, s27, exec_lo
	s_and_b32 s31, s31, exec_lo
	s_or_b32 s28, s28, s30
	s_or_b32 s27, s27, s31
.LBB8_52:                               ;   in Loop: Header=BB8_53 Depth=3
	s_or_b32 exec_lo, exec_lo, s29
	s_and_b32 s29, exec_lo, s27
	s_or_b32 s19, s29, s19
	s_andn2_b32 s26, s26, exec_lo
	s_and_b32 s29, s28, exec_lo
	s_or_b32 s26, s26, s29
	s_andn2_b32 exec_lo, exec_lo, s19
	s_cbranch_execz .LBB8_62
.LBB8_53:                               ;   Parent Loop BB8_38 Depth=1
                                        ;     Parent Loop BB8_44 Depth=2
                                        ; =>    This Inner Loop Header: Depth=3
	v_and_b32_e32 v20, 0x7f, v21
	s_or_b32 s28, s28, exec_lo
	s_or_b32 s27, s27, exec_lo
	s_mov_b32 s29, exec_lo
	v_lshl_add_u32 v22, v20, 2, v16
	ds_read_b32 v22, v22
	s_waitcnt lgkmcnt(0)
	v_cmpx_ne_u32_e32 -1, v22
	s_cbranch_execz .LBB8_52
; %bb.54:                               ;   in Loop: Header=BB8_53 Depth=3
	s_mov_b32 s31, -1
	s_mov_b32 s33, 0
	s_mov_b32 s30, exec_lo
	v_cmpx_ne_u32_e64 v22, v12
	s_cbranch_execz .LBB8_51
; %bb.55:                               ;   in Loop: Header=BB8_53 Depth=3
	v_add_nc_u32_e32 v20, 1, v21
	s_mov_b32 s34, -1
	s_mov_b32 s33, -1
	s_mov_b32 s31, exec_lo
	v_and_b32_e32 v20, 0x7f, v20
	v_lshl_add_u32 v22, v20, 2, v16
	ds_read_b32 v22, v22
	s_waitcnt lgkmcnt(0)
	v_cmpx_ne_u32_e32 -1, v22
	s_cbranch_execz .LBB8_50
; %bb.56:                               ;   in Loop: Header=BB8_53 Depth=3
	s_mov_b32 s35, 0
	s_mov_b32 s33, exec_lo
	v_cmpx_ne_u32_e64 v22, v12
	s_cbranch_execz .LBB8_49
; %bb.57:                               ;   in Loop: Header=BB8_53 Depth=3
	v_add_nc_u32_e32 v20, 2, v21
	s_mov_b32 s36, -1
	s_mov_b32 s35, -1
	s_mov_b32 s34, exec_lo
	v_and_b32_e32 v20, 0x7f, v20
	v_lshl_add_u32 v22, v20, 2, v16
	ds_read_b32 v22, v22
	s_waitcnt lgkmcnt(0)
	v_cmpx_ne_u32_e32 -1, v22
	s_cbranch_execz .LBB8_48
; %bb.58:                               ;   in Loop: Header=BB8_53 Depth=3
	s_mov_b32 s37, 0
	s_mov_b32 s35, exec_lo
	v_cmpx_ne_u32_e64 v22, v12
	s_cbranch_execz .LBB8_47
; %bb.59:                               ;   in Loop: Header=BB8_53 Depth=3
	v_add_nc_u32_e32 v20, 3, v21
	s_mov_b32 s38, -1
	s_mov_b32 s37, -1
	s_mov_b32 s36, exec_lo
	v_and_b32_e32 v20, 0x7f, v20
	v_lshl_add_u32 v21, v20, 2, v16
	ds_read_b32 v22, v21
                                        ; implicit-def: $vgpr21
	s_waitcnt lgkmcnt(0)
	v_cmpx_ne_u32_e32 -1, v22
	s_cbranch_execz .LBB8_46
; %bb.60:                               ;   in Loop: Header=BB8_53 Depth=3
	s_mov_b32 s37, 0
	s_mov_b32 s39, exec_lo
                                        ; implicit-def: $vgpr21
	v_cmpx_ne_u32_e64 v22, v12
	s_cbranch_execz .LBB8_45
; %bb.61:                               ;   in Loop: Header=BB8_53 Depth=3
	v_add_nc_u32_e32 v19, -4, v19
	v_add_nc_u32_e32 v21, 1, v20
	s_mov_b32 s37, exec_lo
	v_cmp_eq_u32_e32 vcc_lo, 0, v19
	s_orn2_b32 s38, vcc_lo, exec_lo
	s_branch .LBB8_45
.LBB8_62:                               ;   in Loop: Header=BB8_44 Depth=2
	s_or_b32 exec_lo, exec_lo, s19
	s_xor_b32 s19, s26, -1
	s_and_saveexec_b32 s26, s19
	s_xor_b32 s19, exec_lo, s26
	s_cbranch_execz .LBB8_43
; %bb.63:                               ;   in Loop: Header=BB8_44 Depth=2
	v_lshl_add_u32 v12, v20, 2, v0
	v_add_co_u32 v9, vcc_lo, s12, v9
	v_add_co_ci_u32_e64 v10, null, s13, v10, vcc_lo
	ds_read_b32 v19, v12
	s_waitcnt lgkmcnt(0)
	v_ashrrev_i32_e32 v20, 31, v19
	v_lshlrev_b64 v[19:20], 2, v[19:20]
	v_add_co_u32 v19, vcc_lo, s12, v19
	v_add_co_ci_u32_e64 v20, null, s13, v20, vcc_lo
	s_clause 0x1
	global_load_dword v9, v[9:10], off
	global_load_dword v10, v[19:20], off
	s_waitcnt vmcnt(0)
	v_fma_f32 v9, -v11, v9, v10
	global_store_dword v[19:20], v9, off
	s_branch .LBB8_43
.LBB8_64:
	s_or_b32 exec_lo, exec_lo, s0
	s_mov_b32 s6, -1
	s_mov_b32 s1, exec_lo
	s_waitcnt_vscnt null, 0x0
	buffer_gl0_inv
	v_cmpx_lt_i32_e32 -1, v6
	s_cbranch_execz .LBB8_80
; %bb.65:
	v_mov_b32_e32 v7, 0
	v_cmp_eq_u32_e64 s0, 0, v13
	v_lshlrev_b64 v[6:7], 2, v[6:7]
	v_add_co_u32 v8, vcc_lo, s12, v6
	v_add_co_ci_u32_e64 v9, null, s13, v7, vcc_lo
	global_load_dword v0, v[8:9], off
	s_waitcnt vmcnt(0)
	v_cmp_gt_f32_e32 vcc_lo, 0, v0
	v_cndmask_b32_e64 v6, v0, -v0, vcc_lo
	s_andn2_b32 vcc_lo, exec_lo, s3
	v_cvt_f64_f32_e32 v[6:7], v6
	s_cbranch_vccnz .LBB8_69
; %bb.66:
	v_cvt_f64_f32_e32 v[10:11], v14
	s_cmp_eq_u64 s[24:25], 8
	s_cselect_b32 vcc_lo, -1, 0
	v_cndmask_b32_e32 v4, v11, v4, vcc_lo
	v_cndmask_b32_e32 v3, v10, v3, vcc_lo
	v_cmp_ge_f64_e32 vcc_lo, v[3:4], v[6:7]
	s_and_b32 s6, s0, vcc_lo
	s_and_saveexec_b32 s3, s6
	s_cbranch_execz .LBB8_68
; %bb.67:
	global_store_dword v[8:9], v15, off
	s_waitcnt_vscnt null, 0x0
	buffer_gl1_inv
	buffer_gl0_inv
.LBB8_68:
	s_or_b32 exec_lo, exec_lo, s3
	s_mov_b32 s6, 0
.LBB8_69:
	s_andn2_b32 vcc_lo, exec_lo, s6
	s_cbranch_vccnz .LBB8_80
; %bb.70:
	s_load_dwordx2 s[4:5], s[4:5], 0x48
	v_add_nc_u32_e32 v3, s2, v5
	s_waitcnt lgkmcnt(0)
	v_cmp_ge_f64_e32 vcc_lo, s[4:5], v[6:7]
	s_and_b32 s3, s0, vcc_lo
	s_and_saveexec_b32 s2, s3
	s_cbranch_execz .LBB8_75
; %bb.71:
	s_mov_b32 s4, exec_lo
	s_brev_b32 s3, -2
.LBB8_72:                               ; =>This Inner Loop Header: Depth=1
	s_ff1_i32_b32 s5, s4
	v_readlane_b32 s6, v3, s5
	s_lshl_b32 s5, 1, s5
	s_andn2_b32 s4, s4, s5
	s_min_i32 s3, s3, s6
	s_cmp_lg_u32 s4, 0
	s_cbranch_scc1 .LBB8_72
; %bb.73:
	v_mbcnt_lo_u32_b32 v4, exec_lo, 0
	s_mov_b32 s4, exec_lo
	v_cmpx_eq_u32_e32 0, v4
	s_xor_b32 s4, exec_lo, s4
	s_cbranch_execz .LBB8_75
; %bb.74:
	v_mov_b32_e32 v4, 0
	v_mov_b32_e32 v5, s3
	global_atomic_smin v4, v5, s[22:23]
.LBB8_75:
	s_or_b32 exec_lo, exec_lo, s2
	v_cmp_eq_f32_e32 vcc_lo, 0, v0
	s_and_b32 s0, s0, vcc_lo
	s_and_b32 exec_lo, exec_lo, s0
	s_cbranch_execz .LBB8_80
; %bb.76:
	s_mov_b32 s2, exec_lo
	s_brev_b32 s0, -2
.LBB8_77:                               ; =>This Inner Loop Header: Depth=1
	s_ff1_i32_b32 s3, s2
	v_readlane_b32 s4, v3, s3
	s_lshl_b32 s3, 1, s3
	s_andn2_b32 s2, s2, s3
	s_min_i32 s0, s0, s4
	s_cmp_lg_u32 s2, 0
	s_cbranch_scc1 .LBB8_77
; %bb.78:
	v_mbcnt_lo_u32_b32 v0, exec_lo, 0
	s_mov_b32 s2, exec_lo
	v_cmpx_eq_u32_e32 0, v0
	s_xor_b32 s2, exec_lo, s2
	s_cbranch_execz .LBB8_80
; %bb.79:
	v_mov_b32_e32 v0, 0
	v_mov_b32_e32 v3, s0
	global_atomic_smin v0, v3, s[20:21]
.LBB8_80:
	s_or_b32 exec_lo, exec_lo, s1
	v_cmp_eq_u32_e32 vcc_lo, 0, v13
	s_waitcnt_vscnt null, 0x0
	buffer_gl1_inv
	buffer_gl0_inv
	s_and_b32 exec_lo, exec_lo, vcc_lo
	s_cbranch_execz .LBB8_82
; %bb.81:
	v_add_co_u32 v0, vcc_lo, s16, v1
	v_add_co_ci_u32_e64 v1, null, s17, v2, vcc_lo
	v_mov_b32_e32 v2, 1
	global_store_dword v[0:1], v2, off
.LBB8_82:
	s_endpgm
	.section	.rodata,"a",@progbits
	.p2align	6, 0x0
	.amdhsa_kernel _ZN9rocsparseL12csrilu0_hashILj256ELj64ELj2EfEEviPKiS2_PT2_S2_PiS2_S5_S5_d21rocsparse_index_base_imNS_24const_host_device_scalarIfEENS7_IdEENS7_IS3_EEb
		.amdhsa_group_segment_fixed_size 4096
		.amdhsa_private_segment_fixed_size 0
		.amdhsa_kernarg_size 124
		.amdhsa_user_sgpr_count 6
		.amdhsa_user_sgpr_private_segment_buffer 1
		.amdhsa_user_sgpr_dispatch_ptr 0
		.amdhsa_user_sgpr_queue_ptr 0
		.amdhsa_user_sgpr_kernarg_segment_ptr 1
		.amdhsa_user_sgpr_dispatch_id 0
		.amdhsa_user_sgpr_flat_scratch_init 0
		.amdhsa_user_sgpr_private_segment_size 0
		.amdhsa_wavefront_size32 1
		.amdhsa_uses_dynamic_stack 0
		.amdhsa_system_sgpr_private_segment_wavefront_offset 0
		.amdhsa_system_sgpr_workgroup_id_x 1
		.amdhsa_system_sgpr_workgroup_id_y 0
		.amdhsa_system_sgpr_workgroup_id_z 0
		.amdhsa_system_sgpr_workgroup_info 0
		.amdhsa_system_vgpr_workitem_id 0
		.amdhsa_next_free_vgpr 24
		.amdhsa_next_free_sgpr 40
		.amdhsa_reserve_vcc 1
		.amdhsa_reserve_flat_scratch 0
		.amdhsa_float_round_mode_32 0
		.amdhsa_float_round_mode_16_64 0
		.amdhsa_float_denorm_mode_32 3
		.amdhsa_float_denorm_mode_16_64 3
		.amdhsa_dx10_clamp 1
		.amdhsa_ieee_mode 1
		.amdhsa_fp16_overflow 0
		.amdhsa_workgroup_processor_mode 1
		.amdhsa_memory_ordered 1
		.amdhsa_forward_progress 1
		.amdhsa_shared_vgpr_count 0
		.amdhsa_exception_fp_ieee_invalid_op 0
		.amdhsa_exception_fp_denorm_src 0
		.amdhsa_exception_fp_ieee_div_zero 0
		.amdhsa_exception_fp_ieee_overflow 0
		.amdhsa_exception_fp_ieee_underflow 0
		.amdhsa_exception_fp_ieee_inexact 0
		.amdhsa_exception_int_div_zero 0
	.end_amdhsa_kernel
	.section	.text._ZN9rocsparseL12csrilu0_hashILj256ELj64ELj2EfEEviPKiS2_PT2_S2_PiS2_S5_S5_d21rocsparse_index_base_imNS_24const_host_device_scalarIfEENS7_IdEENS7_IS3_EEb,"axG",@progbits,_ZN9rocsparseL12csrilu0_hashILj256ELj64ELj2EfEEviPKiS2_PT2_S2_PiS2_S5_S5_d21rocsparse_index_base_imNS_24const_host_device_scalarIfEENS7_IdEENS7_IS3_EEb,comdat
.Lfunc_end8:
	.size	_ZN9rocsparseL12csrilu0_hashILj256ELj64ELj2EfEEviPKiS2_PT2_S2_PiS2_S5_S5_d21rocsparse_index_base_imNS_24const_host_device_scalarIfEENS7_IdEENS7_IS3_EEb, .Lfunc_end8-_ZN9rocsparseL12csrilu0_hashILj256ELj64ELj2EfEEviPKiS2_PT2_S2_PiS2_S5_S5_d21rocsparse_index_base_imNS_24const_host_device_scalarIfEENS7_IdEENS7_IS3_EEb
                                        ; -- End function
	.set _ZN9rocsparseL12csrilu0_hashILj256ELj64ELj2EfEEviPKiS2_PT2_S2_PiS2_S5_S5_d21rocsparse_index_base_imNS_24const_host_device_scalarIfEENS7_IdEENS7_IS3_EEb.num_vgpr, 24
	.set _ZN9rocsparseL12csrilu0_hashILj256ELj64ELj2EfEEviPKiS2_PT2_S2_PiS2_S5_S5_d21rocsparse_index_base_imNS_24const_host_device_scalarIfEENS7_IdEENS7_IS3_EEb.num_agpr, 0
	.set _ZN9rocsparseL12csrilu0_hashILj256ELj64ELj2EfEEviPKiS2_PT2_S2_PiS2_S5_S5_d21rocsparse_index_base_imNS_24const_host_device_scalarIfEENS7_IdEENS7_IS3_EEb.numbered_sgpr, 40
	.set _ZN9rocsparseL12csrilu0_hashILj256ELj64ELj2EfEEviPKiS2_PT2_S2_PiS2_S5_S5_d21rocsparse_index_base_imNS_24const_host_device_scalarIfEENS7_IdEENS7_IS3_EEb.num_named_barrier, 0
	.set _ZN9rocsparseL12csrilu0_hashILj256ELj64ELj2EfEEviPKiS2_PT2_S2_PiS2_S5_S5_d21rocsparse_index_base_imNS_24const_host_device_scalarIfEENS7_IdEENS7_IS3_EEb.private_seg_size, 0
	.set _ZN9rocsparseL12csrilu0_hashILj256ELj64ELj2EfEEviPKiS2_PT2_S2_PiS2_S5_S5_d21rocsparse_index_base_imNS_24const_host_device_scalarIfEENS7_IdEENS7_IS3_EEb.uses_vcc, 1
	.set _ZN9rocsparseL12csrilu0_hashILj256ELj64ELj2EfEEviPKiS2_PT2_S2_PiS2_S5_S5_d21rocsparse_index_base_imNS_24const_host_device_scalarIfEENS7_IdEENS7_IS3_EEb.uses_flat_scratch, 0
	.set _ZN9rocsparseL12csrilu0_hashILj256ELj64ELj2EfEEviPKiS2_PT2_S2_PiS2_S5_S5_d21rocsparse_index_base_imNS_24const_host_device_scalarIfEENS7_IdEENS7_IS3_EEb.has_dyn_sized_stack, 0
	.set _ZN9rocsparseL12csrilu0_hashILj256ELj64ELj2EfEEviPKiS2_PT2_S2_PiS2_S5_S5_d21rocsparse_index_base_imNS_24const_host_device_scalarIfEENS7_IdEENS7_IS3_EEb.has_recursion, 0
	.set _ZN9rocsparseL12csrilu0_hashILj256ELj64ELj2EfEEviPKiS2_PT2_S2_PiS2_S5_S5_d21rocsparse_index_base_imNS_24const_host_device_scalarIfEENS7_IdEENS7_IS3_EEb.has_indirect_call, 0
	.section	.AMDGPU.csdata,"",@progbits
; Kernel info:
; codeLenInByte = 2688
; TotalNumSgprs: 42
; NumVgprs: 24
; ScratchSize: 0
; MemoryBound: 0
; FloatMode: 240
; IeeeMode: 1
; LDSByteSize: 4096 bytes/workgroup (compile time only)
; SGPRBlocks: 0
; VGPRBlocks: 2
; NumSGPRsForWavesPerEU: 42
; NumVGPRsForWavesPerEU: 24
; Occupancy: 16
; WaveLimiterHint : 1
; COMPUTE_PGM_RSRC2:SCRATCH_EN: 0
; COMPUTE_PGM_RSRC2:USER_SGPR: 6
; COMPUTE_PGM_RSRC2:TRAP_HANDLER: 0
; COMPUTE_PGM_RSRC2:TGID_X_EN: 1
; COMPUTE_PGM_RSRC2:TGID_Y_EN: 0
; COMPUTE_PGM_RSRC2:TGID_Z_EN: 0
; COMPUTE_PGM_RSRC2:TIDIG_COMP_CNT: 0
	.section	.text._ZN9rocsparseL12csrilu0_hashILj256ELj64ELj4EfEEviPKiS2_PT2_S2_PiS2_S5_S5_d21rocsparse_index_base_imNS_24const_host_device_scalarIfEENS7_IdEENS7_IS3_EEb,"axG",@progbits,_ZN9rocsparseL12csrilu0_hashILj256ELj64ELj4EfEEviPKiS2_PT2_S2_PiS2_S5_S5_d21rocsparse_index_base_imNS_24const_host_device_scalarIfEENS7_IdEENS7_IS3_EEb,comdat
	.globl	_ZN9rocsparseL12csrilu0_hashILj256ELj64ELj4EfEEviPKiS2_PT2_S2_PiS2_S5_S5_d21rocsparse_index_base_imNS_24const_host_device_scalarIfEENS7_IdEENS7_IS3_EEb ; -- Begin function _ZN9rocsparseL12csrilu0_hashILj256ELj64ELj4EfEEviPKiS2_PT2_S2_PiS2_S5_S5_d21rocsparse_index_base_imNS_24const_host_device_scalarIfEENS7_IdEENS7_IS3_EEb
	.p2align	8
	.type	_ZN9rocsparseL12csrilu0_hashILj256ELj64ELj4EfEEviPKiS2_PT2_S2_PiS2_S5_S5_d21rocsparse_index_base_imNS_24const_host_device_scalarIfEENS7_IdEENS7_IS3_EEb,@function
_ZN9rocsparseL12csrilu0_hashILj256ELj64ELj4EfEEviPKiS2_PT2_S2_PiS2_S5_S5_d21rocsparse_index_base_imNS_24const_host_device_scalarIfEENS7_IdEENS7_IS3_EEb: ; @_ZN9rocsparseL12csrilu0_hashILj256ELj64ELj4EfEEviPKiS2_PT2_S2_PiS2_S5_S5_d21rocsparse_index_base_imNS_24const_host_device_scalarIfEENS7_IdEENS7_IS3_EEb
; %bb.0:
	s_clause 0x2
	s_load_dword s0, s[4:5], 0x78
	s_load_dwordx2 s[2:3], s[4:5], 0x50
	s_load_dwordx8 s[24:31], s[4:5], 0x58
	s_waitcnt lgkmcnt(0)
	s_bitcmp1_b32 s0, 0
	s_cselect_b32 s0, -1, 0
	s_cmp_eq_u32 s3, 0
	s_cselect_b32 s7, -1, 0
	s_cmp_lg_u32 s3, 0
	s_cselect_b32 s3, -1, 0
	s_or_b32 s9, s7, s0
	s_xor_b32 s8, s9, -1
	s_and_b32 s0, s7, exec_lo
	s_cselect_b32 s1, 0, s29
	s_cselect_b32 s0, 0, s28
	s_and_b32 vcc_lo, exec_lo, s9
	s_cbranch_vccnz .LBB9_2
; %bb.1:
	s_load_dword s0, s[26:27], 0x0
	s_waitcnt lgkmcnt(0)
	v_mov_b32_e32 v14, s0
	s_mov_b64 s[0:1], s[28:29]
	s_branch .LBB9_3
.LBB9_2:
	v_cndmask_b32_e64 v14, s26, 0, s7
.LBB9_3:
	v_mov_b32_e32 v4, s1
	v_cndmask_b32_e64 v1, 0, 1, s8
	v_mov_b32_e32 v3, s0
	s_andn2_b32 vcc_lo, exec_lo, s8
	s_cbranch_vccnz .LBB9_5
; %bb.4:
	v_mov_b32_e32 v2, s28
	v_mov_b32_e32 v3, s29
	flat_load_dwordx2 v[3:4], v[2:3]
.LBB9_5:
	v_cmp_ne_u32_e32 vcc_lo, 1, v1
	s_mov_b32 s0, 0
	s_cbranch_vccnz .LBB9_7
; %bb.6:
	s_load_dword s1, s[30:31], 0x0
	s_waitcnt lgkmcnt(0)
	v_mov_b32_e32 v15, s1
	s_branch .LBB9_8
.LBB9_7:
	v_cndmask_b32_e64 v15, s30, 0, s7
.LBB9_8:
	v_lshrrev_b32_e32 v1, 6, v0
	v_and_b32_e32 v13, 63, v0
	v_lshlrev_b32_e32 v5, 10, v1
	v_lshlrev_b32_e32 v6, 2, v13
	v_or_b32_e32 v2, 0xffffffc0, v13
	v_or3_b32 v5, v5, v6, 0x1000
	v_mov_b32_e32 v6, -1
.LBB9_9:                                ; =>This Inner Loop Header: Depth=1
	v_add_nc_u32_e32 v2, 64, v2
	ds_write_b32 v5, v6
	v_add_nc_u32_e32 v5, 0x100, v5
	v_cmp_lt_u32_e32 vcc_lo, 0xbf, v2
	s_or_b32 s0, vcc_lo, s0
	s_andn2_b32 exec_lo, exec_lo, s0
	s_cbranch_execnz .LBB9_9
; %bb.10:
	s_or_b32 exec_lo, exec_lo, s0
	s_load_dword s0, s[4:5], 0x0
	s_lshl_b32 s1, s6, 2
	s_waitcnt vmcnt(0) lgkmcnt(0)
	buffer_gl0_inv
	v_and_or_b32 v1, 0x3fffffc, s1, v1
	v_cmp_gt_i32_e32 vcc_lo, s0, v1
	s_and_saveexec_b32 s0, vcc_lo
	s_cbranch_execz .LBB9_82
; %bb.11:
	s_load_dwordx16 s[8:23], s[4:5], 0x8
	v_lshlrev_b32_e32 v1, 2, v1
	v_lshlrev_b32_e32 v0, 4, v0
	s_mov_b32 s0, exec_lo
	v_and_b32_e32 v0, 0xc00, v0
	v_or_b32_e32 v16, 0x1000, v0
	s_waitcnt lgkmcnt(0)
	global_load_dword v5, v1, s[18:19]
	s_waitcnt vmcnt(0)
	v_ashrrev_i32_e32 v6, 31, v5
	v_lshlrev_b64 v[1:2], 2, v[5:6]
	v_add_co_u32 v6, vcc_lo, s8, v1
	v_add_co_ci_u32_e64 v7, null, s9, v2, vcc_lo
	v_add_co_u32 v9, vcc_lo, s14, v1
	v_add_co_ci_u32_e64 v10, null, s15, v2, vcc_lo
	global_load_dwordx2 v[7:8], v[6:7], off
	global_load_dword v6, v[9:10], off
	s_waitcnt vmcnt(1)
	v_subrev_nc_u32_e32 v7, s2, v7
	v_subrev_nc_u32_e32 v10, s2, v8
	v_add_nc_u32_e32 v8, v7, v13
	v_cmpx_lt_i32_e64 v8, v10
	s_cbranch_execz .LBB9_34
; %bb.12:
	v_mov_b32_e32 v11, -1
	s_mov_b32 s1, 0
	s_branch .LBB9_14
.LBB9_13:                               ;   in Loop: Header=BB9_14 Depth=1
	s_or_b32 exec_lo, exec_lo, s6
	v_add_nc_u32_e32 v8, 64, v8
	v_cmp_ge_i32_e32 vcc_lo, v8, v10
	s_or_b32 s1, vcc_lo, s1
	s_andn2_b32 exec_lo, exec_lo, s1
	s_cbranch_execz .LBB9_34
.LBB9_14:                               ; =>This Loop Header: Depth=1
                                        ;     Child Loop BB9_23 Depth 2
	v_ashrrev_i32_e32 v9, 31, v8
	v_mov_b32_e32 v12, 0x100
	s_mov_b32 s6, 0
                                        ; implicit-def: $sgpr7
                                        ; implicit-def: $sgpr18
                                        ; implicit-def: $sgpr19
	v_lshlrev_b64 v[17:18], 2, v[8:9]
	v_add_co_u32 v17, vcc_lo, s10, v17
	v_add_co_ci_u32_e64 v18, null, s11, v18, vcc_lo
	global_load_dword v9, v[17:18], off
	s_waitcnt vmcnt(0)
	v_mul_lo_u32 v18, 0x67, v9
	s_branch .LBB9_23
.LBB9_15:                               ;   in Loop: Header=BB9_23 Depth=2
	s_or_b32 exec_lo, exec_lo, s36
	s_orn2_b32 s34, s34, exec_lo
	s_orn2_b32 s35, s35, exec_lo
.LBB9_16:                               ;   in Loop: Header=BB9_23 Depth=2
	s_or_b32 exec_lo, exec_lo, s33
	s_and_b32 s34, s34, exec_lo
	s_orn2_b32 s33, s35, exec_lo
.LBB9_17:                               ;   in Loop: Header=BB9_23 Depth=2
	s_or_b32 exec_lo, exec_lo, s31
	s_orn2_b32 s31, s34, exec_lo
	s_orn2_b32 s33, s33, exec_lo
.LBB9_18:                               ;   in Loop: Header=BB9_23 Depth=2
	s_or_b32 exec_lo, exec_lo, s30
	s_and_b32 s31, s31, exec_lo
	s_orn2_b32 s30, s33, exec_lo
.LBB9_19:                               ;   in Loop: Header=BB9_23 Depth=2
	s_or_b32 exec_lo, exec_lo, s29
	s_orn2_b32 s29, s31, exec_lo
	s_orn2_b32 s30, s30, exec_lo
.LBB9_20:                               ;   in Loop: Header=BB9_23 Depth=2
	s_or_b32 exec_lo, exec_lo, s28
	s_and_b32 s29, s29, exec_lo
	s_orn2_b32 s28, s30, exec_lo
.LBB9_21:                               ;   in Loop: Header=BB9_23 Depth=2
	s_or_b32 exec_lo, exec_lo, s27
	s_andn2_b32 s19, s19, exec_lo
	s_and_b32 s27, s29, exec_lo
	s_andn2_b32 s18, s18, exec_lo
	s_and_b32 s28, s28, exec_lo
	s_or_b32 s19, s19, s27
	s_or_b32 s18, s18, s28
.LBB9_22:                               ;   in Loop: Header=BB9_23 Depth=2
	s_or_b32 exec_lo, exec_lo, s26
	s_and_b32 s26, exec_lo, s18
	s_or_b32 s6, s26, s6
	s_andn2_b32 s7, s7, exec_lo
	s_and_b32 s26, s19, exec_lo
	s_or_b32 s7, s7, s26
	s_andn2_b32 exec_lo, exec_lo, s6
	s_cbranch_execz .LBB9_32
.LBB9_23:                               ;   Parent Loop BB9_14 Depth=1
                                        ; =>  This Inner Loop Header: Depth=2
	v_and_b32_e32 v17, 0xff, v18
	s_or_b32 s19, s19, exec_lo
	s_or_b32 s18, s18, exec_lo
	s_mov_b32 s26, exec_lo
	v_lshl_add_u32 v19, v17, 2, v16
	ds_read_b32 v20, v19
	s_waitcnt lgkmcnt(0)
	v_cmpx_ne_u32_e64 v20, v9
	s_cbranch_execz .LBB9_22
; %bb.24:                               ;   in Loop: Header=BB9_23 Depth=2
	ds_cmpst_rtn_b32 v19, v19, v11, v9
	s_mov_b32 s28, -1
	s_mov_b32 s29, 0
	s_mov_b32 s27, exec_lo
	s_waitcnt lgkmcnt(0)
	v_cmpx_ne_u32_e32 -1, v19
	s_cbranch_execz .LBB9_21
; %bb.25:                               ;   in Loop: Header=BB9_23 Depth=2
	v_add_nc_u32_e32 v17, 1, v18
	s_mov_b32 s30, -1
	s_mov_b32 s29, -1
	s_mov_b32 s28, exec_lo
	v_and_b32_e32 v17, 0xff, v17
	v_lshl_add_u32 v19, v17, 2, v16
	ds_read_b32 v20, v19
	s_waitcnt lgkmcnt(0)
	v_cmpx_ne_u32_e64 v20, v9
	s_cbranch_execz .LBB9_20
; %bb.26:                               ;   in Loop: Header=BB9_23 Depth=2
	ds_cmpst_rtn_b32 v19, v19, v11, v9
	s_mov_b32 s31, 0
	s_mov_b32 s29, exec_lo
	s_waitcnt lgkmcnt(0)
	v_cmpx_ne_u32_e32 -1, v19
	s_cbranch_execz .LBB9_19
; %bb.27:                               ;   in Loop: Header=BB9_23 Depth=2
	v_add_nc_u32_e32 v17, 2, v18
	s_mov_b32 s33, -1
	s_mov_b32 s31, -1
	s_mov_b32 s30, exec_lo
	v_and_b32_e32 v17, 0xff, v17
	v_lshl_add_u32 v19, v17, 2, v16
	ds_read_b32 v20, v19
	s_waitcnt lgkmcnt(0)
	v_cmpx_ne_u32_e64 v20, v9
	s_cbranch_execz .LBB9_18
; %bb.28:                               ;   in Loop: Header=BB9_23 Depth=2
	ds_cmpst_rtn_b32 v19, v19, v11, v9
	s_mov_b32 s34, 0
	s_mov_b32 s31, exec_lo
	s_waitcnt lgkmcnt(0)
	v_cmpx_ne_u32_e32 -1, v19
	s_cbranch_execz .LBB9_17
; %bb.29:                               ;   in Loop: Header=BB9_23 Depth=2
	v_add_nc_u32_e32 v17, 3, v18
	s_mov_b32 s35, -1
	s_mov_b32 s34, -1
	v_and_b32_e32 v17, 0xff, v17
	v_lshl_add_u32 v19, v17, 2, v16
	ds_read_b32 v18, v19
	s_waitcnt lgkmcnt(0)
	v_cmp_ne_u32_e32 vcc_lo, v18, v9
                                        ; implicit-def: $vgpr18
	s_and_saveexec_b32 s33, vcc_lo
	s_cbranch_execz .LBB9_16
; %bb.30:                               ;   in Loop: Header=BB9_23 Depth=2
	ds_cmpst_rtn_b32 v18, v19, v11, v9
	s_mov_b32 s34, 0
	s_waitcnt lgkmcnt(0)
	v_cmp_ne_u32_e32 vcc_lo, -1, v18
                                        ; implicit-def: $vgpr18
	s_and_saveexec_b32 s36, vcc_lo
	s_cbranch_execz .LBB9_15
; %bb.31:                               ;   in Loop: Header=BB9_23 Depth=2
	v_add_nc_u32_e32 v12, -4, v12
	v_add_nc_u32_e32 v18, 1, v17
	s_mov_b32 s34, exec_lo
	v_cmp_eq_u32_e32 vcc_lo, 0, v12
	s_orn2_b32 s35, vcc_lo, exec_lo
	s_branch .LBB9_15
.LBB9_32:                               ;   in Loop: Header=BB9_14 Depth=1
	s_or_b32 exec_lo, exec_lo, s6
	s_xor_b32 s6, s7, -1
	s_and_saveexec_b32 s7, s6
	s_xor_b32 s6, exec_lo, s7
	s_cbranch_execz .LBB9_13
; %bb.33:                               ;   in Loop: Header=BB9_14 Depth=1
	v_lshl_add_u32 v9, v17, 2, v0
	ds_write_b32 v9, v8
	s_branch .LBB9_13
.LBB9_34:
	s_or_b32 exec_lo, exec_lo, s0
	s_mov_b32 s0, exec_lo
	s_waitcnt vmcnt(0) lgkmcnt(0)
	buffer_gl0_inv
	v_cmpx_lt_i32_e64 v7, v6
	s_cbranch_execz .LBB9_64
; %bb.35:
	v_add_nc_u32_e32 v17, 1, v13
	s_mov_b32 s1, 0
	s_branch .LBB9_38
.LBB9_36:                               ;   in Loop: Header=BB9_38 Depth=1
	s_or_b32 exec_lo, exec_lo, s7
	v_add_nc_u32_e32 v7, 1, v7
	v_cmp_ge_i32_e32 vcc_lo, v7, v6
	s_orn2_b32 s7, vcc_lo, exec_lo
.LBB9_37:                               ;   in Loop: Header=BB9_38 Depth=1
	s_or_b32 exec_lo, exec_lo, s6
	s_and_b32 s6, exec_lo, s7
	s_or_b32 s1, s6, s1
	s_andn2_b32 exec_lo, exec_lo, s1
	s_cbranch_execz .LBB9_64
.LBB9_38:                               ; =>This Loop Header: Depth=1
                                        ;     Child Loop BB9_39 Depth 2
                                        ;     Child Loop BB9_44 Depth 2
                                        ;       Child Loop BB9_53 Depth 3
	v_ashrrev_i32_e32 v8, 31, v7
	s_mov_b32 s6, 0
	v_lshlrev_b64 v[9:10], 2, v[7:8]
	v_add_co_u32 v11, vcc_lo, s10, v9
	v_add_co_ci_u32_e64 v12, null, s11, v10, vcc_lo
	v_add_co_u32 v9, vcc_lo, s12, v9
	v_add_co_ci_u32_e64 v10, null, s13, v10, vcc_lo
	global_load_dword v8, v[11:12], off
	s_waitcnt vmcnt(0)
	v_subrev_nc_u32_e32 v11, s2, v8
	v_ashrrev_i32_e32 v12, 31, v11
	v_lshlrev_b64 v[11:12], 2, v[11:12]
	v_add_co_u32 v20, vcc_lo, s8, v11
	v_add_co_ci_u32_e64 v21, null, s9, v12, vcc_lo
	v_add_co_u32 v22, vcc_lo, s14, v11
	v_add_co_ci_u32_e64 v23, null, s15, v12, vcc_lo
	global_load_dword v19, v[9:10], off
	global_load_dword v8, v[20:21], off offset:4
	global_load_dword v20, v[22:23], off
	v_add_co_u32 v11, vcc_lo, s16, v11
	v_add_co_ci_u32_e64 v12, null, s17, v12, vcc_lo
.LBB9_39:                               ;   Parent Loop BB9_38 Depth=1
                                        ; =>  This Inner Loop Header: Depth=2
	global_load_dword v18, v[11:12], off glc dlc
	s_waitcnt vmcnt(0)
	v_cmp_ne_u32_e32 vcc_lo, 0, v18
	s_or_b32 s6, vcc_lo, s6
	s_andn2_b32 exec_lo, exec_lo, s6
	s_cbranch_execnz .LBB9_39
; %bb.40:                               ;   in Loop: Header=BB9_38 Depth=1
	s_or_b32 exec_lo, exec_lo, s6
	v_subrev_nc_u32_e32 v18, s2, v8
	v_cmp_eq_u32_e32 vcc_lo, -1, v20
	buffer_gl1_inv
	buffer_gl0_inv
	s_mov_b32 s7, -1
	s_mov_b32 s6, exec_lo
	v_add_nc_u32_e32 v8, -1, v18
	v_cndmask_b32_e32 v11, v20, v8, vcc_lo
	v_ashrrev_i32_e32 v12, 31, v11
	v_lshlrev_b64 v[20:21], 2, v[11:12]
	v_add_co_u32 v20, vcc_lo, s12, v20
	v_add_co_ci_u32_e64 v21, null, s13, v21, vcc_lo
	global_load_dword v12, v[20:21], off
	s_waitcnt vmcnt(0)
	v_cmpx_neq_f32_e32 0, v12
	s_cbranch_execz .LBB9_37
; %bb.41:                               ;   in Loop: Header=BB9_38 Depth=1
	v_div_scale_f32 v8, null, v12, v12, v19
	s_mov_b32 s7, exec_lo
	v_rcp_f32_e32 v20, v8
	v_fma_f32 v21, -v8, v20, 1.0
	v_fmac_f32_e32 v20, v21, v20
	v_div_scale_f32 v21, vcc_lo, v19, v12, v19
	v_mul_f32_e32 v22, v21, v20
	v_fma_f32 v23, -v8, v22, v21
	v_fmac_f32_e32 v22, v23, v20
	v_fma_f32 v8, -v8, v22, v21
	v_div_fmas_f32 v20, v8, v20, v22
	v_add_nc_u32_e32 v8, v17, v11
	v_div_fixup_f32 v11, v20, v12, v19
	global_store_dword v[9:10], v11, off
	v_cmpx_lt_i32_e64 v8, v18
	s_cbranch_execz .LBB9_36
; %bb.42:                               ;   in Loop: Header=BB9_38 Depth=1
	s_mov_b32 s18, 0
	s_branch .LBB9_44
.LBB9_43:                               ;   in Loop: Header=BB9_44 Depth=2
	s_or_b32 exec_lo, exec_lo, s19
	v_add_nc_u32_e32 v8, 64, v8
	v_cmp_ge_i32_e32 vcc_lo, v8, v18
	s_or_b32 s18, vcc_lo, s18
	s_andn2_b32 exec_lo, exec_lo, s18
	s_cbranch_execz .LBB9_36
.LBB9_44:                               ;   Parent Loop BB9_38 Depth=1
                                        ; =>  This Loop Header: Depth=2
                                        ;       Child Loop BB9_53 Depth 3
	v_ashrrev_i32_e32 v9, 31, v8
	s_mov_b32 s19, 0
                                        ; implicit-def: $sgpr26
                                        ; implicit-def: $sgpr27
                                        ; implicit-def: $sgpr28
	v_lshlrev_b64 v[9:10], 2, v[8:9]
	v_add_co_u32 v19, vcc_lo, s10, v9
	v_add_co_ci_u32_e64 v20, null, s11, v10, vcc_lo
	global_load_dword v12, v[19:20], off
	v_mov_b32_e32 v19, 0x100
	s_waitcnt vmcnt(0)
	v_mul_lo_u32 v21, 0x67, v12
	s_branch .LBB9_53
.LBB9_45:                               ;   in Loop: Header=BB9_53 Depth=3
	s_or_b32 exec_lo, exec_lo, s39
	s_orn2_b32 s37, s37, exec_lo
	s_orn2_b32 s38, s38, exec_lo
.LBB9_46:                               ;   in Loop: Header=BB9_53 Depth=3
	s_or_b32 exec_lo, exec_lo, s36
	s_and_b32 s37, s37, exec_lo
	s_orn2_b32 s36, s38, exec_lo
.LBB9_47:                               ;   in Loop: Header=BB9_53 Depth=3
	s_or_b32 exec_lo, exec_lo, s35
	s_orn2_b32 s35, s37, exec_lo
	s_orn2_b32 s36, s36, exec_lo
.LBB9_48:                               ;   in Loop: Header=BB9_53 Depth=3
	s_or_b32 exec_lo, exec_lo, s34
	s_and_b32 s35, s35, exec_lo
	s_orn2_b32 s34, s36, exec_lo
.LBB9_49:                               ;   in Loop: Header=BB9_53 Depth=3
	s_or_b32 exec_lo, exec_lo, s33
	s_orn2_b32 s33, s35, exec_lo
	s_orn2_b32 s34, s34, exec_lo
.LBB9_50:                               ;   in Loop: Header=BB9_53 Depth=3
	s_or_b32 exec_lo, exec_lo, s31
	s_and_b32 s33, s33, exec_lo
	s_orn2_b32 s31, s34, exec_lo
.LBB9_51:                               ;   in Loop: Header=BB9_53 Depth=3
	s_or_b32 exec_lo, exec_lo, s30
	s_andn2_b32 s28, s28, exec_lo
	s_and_b32 s30, s33, exec_lo
	s_andn2_b32 s27, s27, exec_lo
	s_and_b32 s31, s31, exec_lo
	s_or_b32 s28, s28, s30
	s_or_b32 s27, s27, s31
.LBB9_52:                               ;   in Loop: Header=BB9_53 Depth=3
	s_or_b32 exec_lo, exec_lo, s29
	s_and_b32 s29, exec_lo, s27
	s_or_b32 s19, s29, s19
	s_andn2_b32 s26, s26, exec_lo
	s_and_b32 s29, s28, exec_lo
	s_or_b32 s26, s26, s29
	s_andn2_b32 exec_lo, exec_lo, s19
	s_cbranch_execz .LBB9_62
.LBB9_53:                               ;   Parent Loop BB9_38 Depth=1
                                        ;     Parent Loop BB9_44 Depth=2
                                        ; =>    This Inner Loop Header: Depth=3
	v_and_b32_e32 v20, 0xff, v21
	s_or_b32 s28, s28, exec_lo
	s_or_b32 s27, s27, exec_lo
	s_mov_b32 s29, exec_lo
	v_lshl_add_u32 v22, v20, 2, v16
	ds_read_b32 v22, v22
	s_waitcnt lgkmcnt(0)
	v_cmpx_ne_u32_e32 -1, v22
	s_cbranch_execz .LBB9_52
; %bb.54:                               ;   in Loop: Header=BB9_53 Depth=3
	s_mov_b32 s31, -1
	s_mov_b32 s33, 0
	s_mov_b32 s30, exec_lo
	v_cmpx_ne_u32_e64 v22, v12
	s_cbranch_execz .LBB9_51
; %bb.55:                               ;   in Loop: Header=BB9_53 Depth=3
	v_add_nc_u32_e32 v20, 1, v21
	s_mov_b32 s34, -1
	s_mov_b32 s33, -1
	s_mov_b32 s31, exec_lo
	v_and_b32_e32 v20, 0xff, v20
	v_lshl_add_u32 v22, v20, 2, v16
	ds_read_b32 v22, v22
	s_waitcnt lgkmcnt(0)
	v_cmpx_ne_u32_e32 -1, v22
	s_cbranch_execz .LBB9_50
; %bb.56:                               ;   in Loop: Header=BB9_53 Depth=3
	s_mov_b32 s35, 0
	s_mov_b32 s33, exec_lo
	v_cmpx_ne_u32_e64 v22, v12
	s_cbranch_execz .LBB9_49
; %bb.57:                               ;   in Loop: Header=BB9_53 Depth=3
	v_add_nc_u32_e32 v20, 2, v21
	s_mov_b32 s36, -1
	s_mov_b32 s35, -1
	s_mov_b32 s34, exec_lo
	v_and_b32_e32 v20, 0xff, v20
	v_lshl_add_u32 v22, v20, 2, v16
	ds_read_b32 v22, v22
	s_waitcnt lgkmcnt(0)
	v_cmpx_ne_u32_e32 -1, v22
	s_cbranch_execz .LBB9_48
; %bb.58:                               ;   in Loop: Header=BB9_53 Depth=3
	s_mov_b32 s37, 0
	s_mov_b32 s35, exec_lo
	v_cmpx_ne_u32_e64 v22, v12
	s_cbranch_execz .LBB9_47
; %bb.59:                               ;   in Loop: Header=BB9_53 Depth=3
	v_add_nc_u32_e32 v20, 3, v21
	s_mov_b32 s38, -1
	s_mov_b32 s37, -1
	s_mov_b32 s36, exec_lo
	v_and_b32_e32 v20, 0xff, v20
	v_lshl_add_u32 v21, v20, 2, v16
	ds_read_b32 v22, v21
                                        ; implicit-def: $vgpr21
	s_waitcnt lgkmcnt(0)
	v_cmpx_ne_u32_e32 -1, v22
	s_cbranch_execz .LBB9_46
; %bb.60:                               ;   in Loop: Header=BB9_53 Depth=3
	s_mov_b32 s37, 0
	s_mov_b32 s39, exec_lo
                                        ; implicit-def: $vgpr21
	v_cmpx_ne_u32_e64 v22, v12
	s_cbranch_execz .LBB9_45
; %bb.61:                               ;   in Loop: Header=BB9_53 Depth=3
	v_add_nc_u32_e32 v19, -4, v19
	v_add_nc_u32_e32 v21, 1, v20
	s_mov_b32 s37, exec_lo
	v_cmp_eq_u32_e32 vcc_lo, 0, v19
	s_orn2_b32 s38, vcc_lo, exec_lo
	s_branch .LBB9_45
.LBB9_62:                               ;   in Loop: Header=BB9_44 Depth=2
	s_or_b32 exec_lo, exec_lo, s19
	s_xor_b32 s19, s26, -1
	s_and_saveexec_b32 s26, s19
	s_xor_b32 s19, exec_lo, s26
	s_cbranch_execz .LBB9_43
; %bb.63:                               ;   in Loop: Header=BB9_44 Depth=2
	v_lshl_add_u32 v12, v20, 2, v0
	v_add_co_u32 v9, vcc_lo, s12, v9
	v_add_co_ci_u32_e64 v10, null, s13, v10, vcc_lo
	ds_read_b32 v19, v12
	s_waitcnt lgkmcnt(0)
	v_ashrrev_i32_e32 v20, 31, v19
	v_lshlrev_b64 v[19:20], 2, v[19:20]
	v_add_co_u32 v19, vcc_lo, s12, v19
	v_add_co_ci_u32_e64 v20, null, s13, v20, vcc_lo
	s_clause 0x1
	global_load_dword v9, v[9:10], off
	global_load_dword v10, v[19:20], off
	s_waitcnt vmcnt(0)
	v_fma_f32 v9, -v11, v9, v10
	global_store_dword v[19:20], v9, off
	s_branch .LBB9_43
.LBB9_64:
	s_or_b32 exec_lo, exec_lo, s0
	s_mov_b32 s6, -1
	s_mov_b32 s1, exec_lo
	s_waitcnt_vscnt null, 0x0
	buffer_gl0_inv
	v_cmpx_lt_i32_e32 -1, v6
	s_cbranch_execz .LBB9_80
; %bb.65:
	v_mov_b32_e32 v7, 0
	v_cmp_eq_u32_e64 s0, 0, v13
	v_lshlrev_b64 v[6:7], 2, v[6:7]
	v_add_co_u32 v8, vcc_lo, s12, v6
	v_add_co_ci_u32_e64 v9, null, s13, v7, vcc_lo
	global_load_dword v0, v[8:9], off
	s_waitcnt vmcnt(0)
	v_cmp_gt_f32_e32 vcc_lo, 0, v0
	v_cndmask_b32_e64 v6, v0, -v0, vcc_lo
	s_andn2_b32 vcc_lo, exec_lo, s3
	v_cvt_f64_f32_e32 v[6:7], v6
	s_cbranch_vccnz .LBB9_69
; %bb.66:
	v_cvt_f64_f32_e32 v[10:11], v14
	s_cmp_eq_u64 s[24:25], 8
	s_cselect_b32 vcc_lo, -1, 0
	v_cndmask_b32_e32 v4, v11, v4, vcc_lo
	v_cndmask_b32_e32 v3, v10, v3, vcc_lo
	v_cmp_ge_f64_e32 vcc_lo, v[3:4], v[6:7]
	s_and_b32 s6, s0, vcc_lo
	s_and_saveexec_b32 s3, s6
	s_cbranch_execz .LBB9_68
; %bb.67:
	global_store_dword v[8:9], v15, off
	s_waitcnt_vscnt null, 0x0
	buffer_gl1_inv
	buffer_gl0_inv
.LBB9_68:
	s_or_b32 exec_lo, exec_lo, s3
	s_mov_b32 s6, 0
.LBB9_69:
	s_andn2_b32 vcc_lo, exec_lo, s6
	s_cbranch_vccnz .LBB9_80
; %bb.70:
	s_load_dwordx2 s[4:5], s[4:5], 0x48
	v_add_nc_u32_e32 v3, s2, v5
	s_waitcnt lgkmcnt(0)
	v_cmp_ge_f64_e32 vcc_lo, s[4:5], v[6:7]
	s_and_b32 s3, s0, vcc_lo
	s_and_saveexec_b32 s2, s3
	s_cbranch_execz .LBB9_75
; %bb.71:
	s_mov_b32 s4, exec_lo
	s_brev_b32 s3, -2
.LBB9_72:                               ; =>This Inner Loop Header: Depth=1
	s_ff1_i32_b32 s5, s4
	v_readlane_b32 s6, v3, s5
	s_lshl_b32 s5, 1, s5
	s_andn2_b32 s4, s4, s5
	s_min_i32 s3, s3, s6
	s_cmp_lg_u32 s4, 0
	s_cbranch_scc1 .LBB9_72
; %bb.73:
	v_mbcnt_lo_u32_b32 v4, exec_lo, 0
	s_mov_b32 s4, exec_lo
	v_cmpx_eq_u32_e32 0, v4
	s_xor_b32 s4, exec_lo, s4
	s_cbranch_execz .LBB9_75
; %bb.74:
	v_mov_b32_e32 v4, 0
	v_mov_b32_e32 v5, s3
	global_atomic_smin v4, v5, s[22:23]
.LBB9_75:
	s_or_b32 exec_lo, exec_lo, s2
	v_cmp_eq_f32_e32 vcc_lo, 0, v0
	s_and_b32 s0, s0, vcc_lo
	s_and_b32 exec_lo, exec_lo, s0
	s_cbranch_execz .LBB9_80
; %bb.76:
	s_mov_b32 s2, exec_lo
	s_brev_b32 s0, -2
.LBB9_77:                               ; =>This Inner Loop Header: Depth=1
	s_ff1_i32_b32 s3, s2
	v_readlane_b32 s4, v3, s3
	s_lshl_b32 s3, 1, s3
	s_andn2_b32 s2, s2, s3
	s_min_i32 s0, s0, s4
	s_cmp_lg_u32 s2, 0
	s_cbranch_scc1 .LBB9_77
; %bb.78:
	v_mbcnt_lo_u32_b32 v0, exec_lo, 0
	s_mov_b32 s2, exec_lo
	v_cmpx_eq_u32_e32 0, v0
	s_xor_b32 s2, exec_lo, s2
	s_cbranch_execz .LBB9_80
; %bb.79:
	v_mov_b32_e32 v0, 0
	v_mov_b32_e32 v3, s0
	global_atomic_smin v0, v3, s[20:21]
.LBB9_80:
	s_or_b32 exec_lo, exec_lo, s1
	v_cmp_eq_u32_e32 vcc_lo, 0, v13
	s_waitcnt_vscnt null, 0x0
	buffer_gl1_inv
	buffer_gl0_inv
	s_and_b32 exec_lo, exec_lo, vcc_lo
	s_cbranch_execz .LBB9_82
; %bb.81:
	v_add_co_u32 v0, vcc_lo, s16, v1
	v_add_co_ci_u32_e64 v1, null, s17, v2, vcc_lo
	v_mov_b32_e32 v2, 1
	global_store_dword v[0:1], v2, off
.LBB9_82:
	s_endpgm
	.section	.rodata,"a",@progbits
	.p2align	6, 0x0
	.amdhsa_kernel _ZN9rocsparseL12csrilu0_hashILj256ELj64ELj4EfEEviPKiS2_PT2_S2_PiS2_S5_S5_d21rocsparse_index_base_imNS_24const_host_device_scalarIfEENS7_IdEENS7_IS3_EEb
		.amdhsa_group_segment_fixed_size 8192
		.amdhsa_private_segment_fixed_size 0
		.amdhsa_kernarg_size 124
		.amdhsa_user_sgpr_count 6
		.amdhsa_user_sgpr_private_segment_buffer 1
		.amdhsa_user_sgpr_dispatch_ptr 0
		.amdhsa_user_sgpr_queue_ptr 0
		.amdhsa_user_sgpr_kernarg_segment_ptr 1
		.amdhsa_user_sgpr_dispatch_id 0
		.amdhsa_user_sgpr_flat_scratch_init 0
		.amdhsa_user_sgpr_private_segment_size 0
		.amdhsa_wavefront_size32 1
		.amdhsa_uses_dynamic_stack 0
		.amdhsa_system_sgpr_private_segment_wavefront_offset 0
		.amdhsa_system_sgpr_workgroup_id_x 1
		.amdhsa_system_sgpr_workgroup_id_y 0
		.amdhsa_system_sgpr_workgroup_id_z 0
		.amdhsa_system_sgpr_workgroup_info 0
		.amdhsa_system_vgpr_workitem_id 0
		.amdhsa_next_free_vgpr 24
		.amdhsa_next_free_sgpr 40
		.amdhsa_reserve_vcc 1
		.amdhsa_reserve_flat_scratch 0
		.amdhsa_float_round_mode_32 0
		.amdhsa_float_round_mode_16_64 0
		.amdhsa_float_denorm_mode_32 3
		.amdhsa_float_denorm_mode_16_64 3
		.amdhsa_dx10_clamp 1
		.amdhsa_ieee_mode 1
		.amdhsa_fp16_overflow 0
		.amdhsa_workgroup_processor_mode 1
		.amdhsa_memory_ordered 1
		.amdhsa_forward_progress 1
		.amdhsa_shared_vgpr_count 0
		.amdhsa_exception_fp_ieee_invalid_op 0
		.amdhsa_exception_fp_denorm_src 0
		.amdhsa_exception_fp_ieee_div_zero 0
		.amdhsa_exception_fp_ieee_overflow 0
		.amdhsa_exception_fp_ieee_underflow 0
		.amdhsa_exception_fp_ieee_inexact 0
		.amdhsa_exception_int_div_zero 0
	.end_amdhsa_kernel
	.section	.text._ZN9rocsparseL12csrilu0_hashILj256ELj64ELj4EfEEviPKiS2_PT2_S2_PiS2_S5_S5_d21rocsparse_index_base_imNS_24const_host_device_scalarIfEENS7_IdEENS7_IS3_EEb,"axG",@progbits,_ZN9rocsparseL12csrilu0_hashILj256ELj64ELj4EfEEviPKiS2_PT2_S2_PiS2_S5_S5_d21rocsparse_index_base_imNS_24const_host_device_scalarIfEENS7_IdEENS7_IS3_EEb,comdat
.Lfunc_end9:
	.size	_ZN9rocsparseL12csrilu0_hashILj256ELj64ELj4EfEEviPKiS2_PT2_S2_PiS2_S5_S5_d21rocsparse_index_base_imNS_24const_host_device_scalarIfEENS7_IdEENS7_IS3_EEb, .Lfunc_end9-_ZN9rocsparseL12csrilu0_hashILj256ELj64ELj4EfEEviPKiS2_PT2_S2_PiS2_S5_S5_d21rocsparse_index_base_imNS_24const_host_device_scalarIfEENS7_IdEENS7_IS3_EEb
                                        ; -- End function
	.set _ZN9rocsparseL12csrilu0_hashILj256ELj64ELj4EfEEviPKiS2_PT2_S2_PiS2_S5_S5_d21rocsparse_index_base_imNS_24const_host_device_scalarIfEENS7_IdEENS7_IS3_EEb.num_vgpr, 24
	.set _ZN9rocsparseL12csrilu0_hashILj256ELj64ELj4EfEEviPKiS2_PT2_S2_PiS2_S5_S5_d21rocsparse_index_base_imNS_24const_host_device_scalarIfEENS7_IdEENS7_IS3_EEb.num_agpr, 0
	.set _ZN9rocsparseL12csrilu0_hashILj256ELj64ELj4EfEEviPKiS2_PT2_S2_PiS2_S5_S5_d21rocsparse_index_base_imNS_24const_host_device_scalarIfEENS7_IdEENS7_IS3_EEb.numbered_sgpr, 40
	.set _ZN9rocsparseL12csrilu0_hashILj256ELj64ELj4EfEEviPKiS2_PT2_S2_PiS2_S5_S5_d21rocsparse_index_base_imNS_24const_host_device_scalarIfEENS7_IdEENS7_IS3_EEb.num_named_barrier, 0
	.set _ZN9rocsparseL12csrilu0_hashILj256ELj64ELj4EfEEviPKiS2_PT2_S2_PiS2_S5_S5_d21rocsparse_index_base_imNS_24const_host_device_scalarIfEENS7_IdEENS7_IS3_EEb.private_seg_size, 0
	.set _ZN9rocsparseL12csrilu0_hashILj256ELj64ELj4EfEEviPKiS2_PT2_S2_PiS2_S5_S5_d21rocsparse_index_base_imNS_24const_host_device_scalarIfEENS7_IdEENS7_IS3_EEb.uses_vcc, 1
	.set _ZN9rocsparseL12csrilu0_hashILj256ELj64ELj4EfEEviPKiS2_PT2_S2_PiS2_S5_S5_d21rocsparse_index_base_imNS_24const_host_device_scalarIfEENS7_IdEENS7_IS3_EEb.uses_flat_scratch, 0
	.set _ZN9rocsparseL12csrilu0_hashILj256ELj64ELj4EfEEviPKiS2_PT2_S2_PiS2_S5_S5_d21rocsparse_index_base_imNS_24const_host_device_scalarIfEENS7_IdEENS7_IS3_EEb.has_dyn_sized_stack, 0
	.set _ZN9rocsparseL12csrilu0_hashILj256ELj64ELj4EfEEviPKiS2_PT2_S2_PiS2_S5_S5_d21rocsparse_index_base_imNS_24const_host_device_scalarIfEENS7_IdEENS7_IS3_EEb.has_recursion, 0
	.set _ZN9rocsparseL12csrilu0_hashILj256ELj64ELj4EfEEviPKiS2_PT2_S2_PiS2_S5_S5_d21rocsparse_index_base_imNS_24const_host_device_scalarIfEENS7_IdEENS7_IS3_EEb.has_indirect_call, 0
	.section	.AMDGPU.csdata,"",@progbits
; Kernel info:
; codeLenInByte = 2684
; TotalNumSgprs: 42
; NumVgprs: 24
; ScratchSize: 0
; MemoryBound: 0
; FloatMode: 240
; IeeeMode: 1
; LDSByteSize: 8192 bytes/workgroup (compile time only)
; SGPRBlocks: 0
; VGPRBlocks: 2
; NumSGPRsForWavesPerEU: 42
; NumVGPRsForWavesPerEU: 24
; Occupancy: 16
; WaveLimiterHint : 1
; COMPUTE_PGM_RSRC2:SCRATCH_EN: 0
; COMPUTE_PGM_RSRC2:USER_SGPR: 6
; COMPUTE_PGM_RSRC2:TRAP_HANDLER: 0
; COMPUTE_PGM_RSRC2:TGID_X_EN: 1
; COMPUTE_PGM_RSRC2:TGID_Y_EN: 0
; COMPUTE_PGM_RSRC2:TGID_Z_EN: 0
; COMPUTE_PGM_RSRC2:TIDIG_COMP_CNT: 0
	.section	.text._ZN9rocsparseL12csrilu0_hashILj256ELj64ELj8EfEEviPKiS2_PT2_S2_PiS2_S5_S5_d21rocsparse_index_base_imNS_24const_host_device_scalarIfEENS7_IdEENS7_IS3_EEb,"axG",@progbits,_ZN9rocsparseL12csrilu0_hashILj256ELj64ELj8EfEEviPKiS2_PT2_S2_PiS2_S5_S5_d21rocsparse_index_base_imNS_24const_host_device_scalarIfEENS7_IdEENS7_IS3_EEb,comdat
	.globl	_ZN9rocsparseL12csrilu0_hashILj256ELj64ELj8EfEEviPKiS2_PT2_S2_PiS2_S5_S5_d21rocsparse_index_base_imNS_24const_host_device_scalarIfEENS7_IdEENS7_IS3_EEb ; -- Begin function _ZN9rocsparseL12csrilu0_hashILj256ELj64ELj8EfEEviPKiS2_PT2_S2_PiS2_S5_S5_d21rocsparse_index_base_imNS_24const_host_device_scalarIfEENS7_IdEENS7_IS3_EEb
	.p2align	8
	.type	_ZN9rocsparseL12csrilu0_hashILj256ELj64ELj8EfEEviPKiS2_PT2_S2_PiS2_S5_S5_d21rocsparse_index_base_imNS_24const_host_device_scalarIfEENS7_IdEENS7_IS3_EEb,@function
_ZN9rocsparseL12csrilu0_hashILj256ELj64ELj8EfEEviPKiS2_PT2_S2_PiS2_S5_S5_d21rocsparse_index_base_imNS_24const_host_device_scalarIfEENS7_IdEENS7_IS3_EEb: ; @_ZN9rocsparseL12csrilu0_hashILj256ELj64ELj8EfEEviPKiS2_PT2_S2_PiS2_S5_S5_d21rocsparse_index_base_imNS_24const_host_device_scalarIfEENS7_IdEENS7_IS3_EEb
; %bb.0:
	s_clause 0x2
	s_load_dword s0, s[4:5], 0x78
	s_load_dwordx2 s[2:3], s[4:5], 0x50
	s_load_dwordx8 s[24:31], s[4:5], 0x58
	s_waitcnt lgkmcnt(0)
	s_bitcmp1_b32 s0, 0
	s_cselect_b32 s0, -1, 0
	s_cmp_eq_u32 s3, 0
	s_cselect_b32 s7, -1, 0
	s_cmp_lg_u32 s3, 0
	s_cselect_b32 s3, -1, 0
	s_or_b32 s9, s7, s0
	s_xor_b32 s8, s9, -1
	s_and_b32 s0, s7, exec_lo
	s_cselect_b32 s1, 0, s29
	s_cselect_b32 s0, 0, s28
	s_and_b32 vcc_lo, exec_lo, s9
	s_cbranch_vccnz .LBB10_2
; %bb.1:
	s_load_dword s0, s[26:27], 0x0
	s_waitcnt lgkmcnt(0)
	v_mov_b32_e32 v14, s0
	s_mov_b64 s[0:1], s[28:29]
	s_branch .LBB10_3
.LBB10_2:
	v_cndmask_b32_e64 v14, s26, 0, s7
.LBB10_3:
	v_mov_b32_e32 v4, s1
	v_cndmask_b32_e64 v1, 0, 1, s8
	v_mov_b32_e32 v3, s0
	s_andn2_b32 vcc_lo, exec_lo, s8
	s_cbranch_vccnz .LBB10_5
; %bb.4:
	v_mov_b32_e32 v2, s28
	v_mov_b32_e32 v3, s29
	flat_load_dwordx2 v[3:4], v[2:3]
.LBB10_5:
	v_cmp_ne_u32_e32 vcc_lo, 1, v1
	s_mov_b32 s0, 0
	s_cbranch_vccnz .LBB10_7
; %bb.6:
	s_load_dword s1, s[30:31], 0x0
	s_waitcnt lgkmcnt(0)
	v_mov_b32_e32 v15, s1
	s_branch .LBB10_8
.LBB10_7:
	v_cndmask_b32_e64 v15, s30, 0, s7
.LBB10_8:
	v_lshrrev_b32_e32 v1, 6, v0
	v_and_b32_e32 v13, 63, v0
	v_lshlrev_b32_e32 v5, 11, v1
	v_lshlrev_b32_e32 v6, 2, v13
	v_or_b32_e32 v2, 0xffffffc0, v13
	v_or3_b32 v5, v5, v6, 0x2000
	v_mov_b32_e32 v6, -1
.LBB10_9:                               ; =>This Inner Loop Header: Depth=1
	v_add_nc_u32_e32 v2, 64, v2
	ds_write_b32 v5, v6
	v_add_nc_u32_e32 v5, 0x100, v5
	v_cmp_lt_u32_e32 vcc_lo, 0x1bf, v2
	s_or_b32 s0, vcc_lo, s0
	s_andn2_b32 exec_lo, exec_lo, s0
	s_cbranch_execnz .LBB10_9
; %bb.10:
	s_or_b32 exec_lo, exec_lo, s0
	s_load_dword s0, s[4:5], 0x0
	s_lshl_b32 s1, s6, 2
	s_waitcnt vmcnt(0) lgkmcnt(0)
	buffer_gl0_inv
	v_and_or_b32 v1, 0x3fffffc, s1, v1
	v_cmp_gt_i32_e32 vcc_lo, s0, v1
	s_and_saveexec_b32 s0, vcc_lo
	s_cbranch_execz .LBB10_82
; %bb.11:
	s_load_dwordx16 s[8:23], s[4:5], 0x8
	v_lshlrev_b32_e32 v1, 2, v1
	v_lshlrev_b32_e32 v0, 5, v0
	s_mov_b32 s0, exec_lo
	v_and_b32_e32 v0, 0x1800, v0
	v_or_b32_e32 v16, 0x2000, v0
	s_waitcnt lgkmcnt(0)
	global_load_dword v5, v1, s[18:19]
	s_waitcnt vmcnt(0)
	v_ashrrev_i32_e32 v6, 31, v5
	v_lshlrev_b64 v[1:2], 2, v[5:6]
	v_add_co_u32 v6, vcc_lo, s8, v1
	v_add_co_ci_u32_e64 v7, null, s9, v2, vcc_lo
	v_add_co_u32 v9, vcc_lo, s14, v1
	v_add_co_ci_u32_e64 v10, null, s15, v2, vcc_lo
	global_load_dwordx2 v[7:8], v[6:7], off
	global_load_dword v6, v[9:10], off
	s_waitcnt vmcnt(1)
	v_subrev_nc_u32_e32 v7, s2, v7
	v_subrev_nc_u32_e32 v10, s2, v8
	v_add_nc_u32_e32 v8, v7, v13
	v_cmpx_lt_i32_e64 v8, v10
	s_cbranch_execz .LBB10_34
; %bb.12:
	v_mov_b32_e32 v11, -1
	s_mov_b32 s1, 0
	s_branch .LBB10_14
.LBB10_13:                              ;   in Loop: Header=BB10_14 Depth=1
	s_or_b32 exec_lo, exec_lo, s6
	v_add_nc_u32_e32 v8, 64, v8
	v_cmp_ge_i32_e32 vcc_lo, v8, v10
	s_or_b32 s1, vcc_lo, s1
	s_andn2_b32 exec_lo, exec_lo, s1
	s_cbranch_execz .LBB10_34
.LBB10_14:                              ; =>This Loop Header: Depth=1
                                        ;     Child Loop BB10_23 Depth 2
	v_ashrrev_i32_e32 v9, 31, v8
	v_mov_b32_e32 v12, 0x200
	s_mov_b32 s6, 0
                                        ; implicit-def: $sgpr7
                                        ; implicit-def: $sgpr18
                                        ; implicit-def: $sgpr19
	v_lshlrev_b64 v[17:18], 2, v[8:9]
	v_add_co_u32 v17, vcc_lo, s10, v17
	v_add_co_ci_u32_e64 v18, null, s11, v18, vcc_lo
	global_load_dword v9, v[17:18], off
	s_waitcnt vmcnt(0)
	v_mul_lo_u32 v18, 0x67, v9
	s_branch .LBB10_23
.LBB10_15:                              ;   in Loop: Header=BB10_23 Depth=2
	s_or_b32 exec_lo, exec_lo, s36
	s_orn2_b32 s34, s34, exec_lo
	s_orn2_b32 s35, s35, exec_lo
.LBB10_16:                              ;   in Loop: Header=BB10_23 Depth=2
	s_or_b32 exec_lo, exec_lo, s33
	s_and_b32 s34, s34, exec_lo
	s_orn2_b32 s33, s35, exec_lo
.LBB10_17:                              ;   in Loop: Header=BB10_23 Depth=2
	s_or_b32 exec_lo, exec_lo, s31
	s_orn2_b32 s31, s34, exec_lo
	s_orn2_b32 s33, s33, exec_lo
.LBB10_18:                              ;   in Loop: Header=BB10_23 Depth=2
	s_or_b32 exec_lo, exec_lo, s30
	s_and_b32 s31, s31, exec_lo
	s_orn2_b32 s30, s33, exec_lo
.LBB10_19:                              ;   in Loop: Header=BB10_23 Depth=2
	s_or_b32 exec_lo, exec_lo, s29
	s_orn2_b32 s29, s31, exec_lo
	s_orn2_b32 s30, s30, exec_lo
.LBB10_20:                              ;   in Loop: Header=BB10_23 Depth=2
	s_or_b32 exec_lo, exec_lo, s28
	s_and_b32 s29, s29, exec_lo
	s_orn2_b32 s28, s30, exec_lo
.LBB10_21:                              ;   in Loop: Header=BB10_23 Depth=2
	s_or_b32 exec_lo, exec_lo, s27
	s_andn2_b32 s19, s19, exec_lo
	s_and_b32 s27, s29, exec_lo
	s_andn2_b32 s18, s18, exec_lo
	s_and_b32 s28, s28, exec_lo
	s_or_b32 s19, s19, s27
	s_or_b32 s18, s18, s28
.LBB10_22:                              ;   in Loop: Header=BB10_23 Depth=2
	s_or_b32 exec_lo, exec_lo, s26
	s_and_b32 s26, exec_lo, s18
	s_or_b32 s6, s26, s6
	s_andn2_b32 s7, s7, exec_lo
	s_and_b32 s26, s19, exec_lo
	s_or_b32 s7, s7, s26
	s_andn2_b32 exec_lo, exec_lo, s6
	s_cbranch_execz .LBB10_32
.LBB10_23:                              ;   Parent Loop BB10_14 Depth=1
                                        ; =>  This Inner Loop Header: Depth=2
	v_and_b32_e32 v17, 0x1ff, v18
	s_or_b32 s19, s19, exec_lo
	s_or_b32 s18, s18, exec_lo
	s_mov_b32 s26, exec_lo
	v_lshl_add_u32 v19, v17, 2, v16
	ds_read_b32 v20, v19
	s_waitcnt lgkmcnt(0)
	v_cmpx_ne_u32_e64 v20, v9
	s_cbranch_execz .LBB10_22
; %bb.24:                               ;   in Loop: Header=BB10_23 Depth=2
	ds_cmpst_rtn_b32 v19, v19, v11, v9
	s_mov_b32 s28, -1
	s_mov_b32 s29, 0
	s_mov_b32 s27, exec_lo
	s_waitcnt lgkmcnt(0)
	v_cmpx_ne_u32_e32 -1, v19
	s_cbranch_execz .LBB10_21
; %bb.25:                               ;   in Loop: Header=BB10_23 Depth=2
	v_add_nc_u32_e32 v17, 1, v18
	s_mov_b32 s30, -1
	s_mov_b32 s29, -1
	s_mov_b32 s28, exec_lo
	v_and_b32_e32 v17, 0x1ff, v17
	v_lshl_add_u32 v19, v17, 2, v16
	ds_read_b32 v20, v19
	s_waitcnt lgkmcnt(0)
	v_cmpx_ne_u32_e64 v20, v9
	s_cbranch_execz .LBB10_20
; %bb.26:                               ;   in Loop: Header=BB10_23 Depth=2
	ds_cmpst_rtn_b32 v19, v19, v11, v9
	s_mov_b32 s31, 0
	s_mov_b32 s29, exec_lo
	s_waitcnt lgkmcnt(0)
	v_cmpx_ne_u32_e32 -1, v19
	s_cbranch_execz .LBB10_19
; %bb.27:                               ;   in Loop: Header=BB10_23 Depth=2
	v_add_nc_u32_e32 v17, 2, v18
	s_mov_b32 s33, -1
	s_mov_b32 s31, -1
	s_mov_b32 s30, exec_lo
	v_and_b32_e32 v17, 0x1ff, v17
	v_lshl_add_u32 v19, v17, 2, v16
	ds_read_b32 v20, v19
	s_waitcnt lgkmcnt(0)
	v_cmpx_ne_u32_e64 v20, v9
	s_cbranch_execz .LBB10_18
; %bb.28:                               ;   in Loop: Header=BB10_23 Depth=2
	ds_cmpst_rtn_b32 v19, v19, v11, v9
	s_mov_b32 s34, 0
	s_mov_b32 s31, exec_lo
	s_waitcnt lgkmcnt(0)
	v_cmpx_ne_u32_e32 -1, v19
	s_cbranch_execz .LBB10_17
; %bb.29:                               ;   in Loop: Header=BB10_23 Depth=2
	v_add_nc_u32_e32 v17, 3, v18
	s_mov_b32 s35, -1
	s_mov_b32 s34, -1
	v_and_b32_e32 v17, 0x1ff, v17
	v_lshl_add_u32 v19, v17, 2, v16
	ds_read_b32 v18, v19
	s_waitcnt lgkmcnt(0)
	v_cmp_ne_u32_e32 vcc_lo, v18, v9
                                        ; implicit-def: $vgpr18
	s_and_saveexec_b32 s33, vcc_lo
	s_cbranch_execz .LBB10_16
; %bb.30:                               ;   in Loop: Header=BB10_23 Depth=2
	ds_cmpst_rtn_b32 v18, v19, v11, v9
	s_mov_b32 s34, 0
	s_waitcnt lgkmcnt(0)
	v_cmp_ne_u32_e32 vcc_lo, -1, v18
                                        ; implicit-def: $vgpr18
	s_and_saveexec_b32 s36, vcc_lo
	s_cbranch_execz .LBB10_15
; %bb.31:                               ;   in Loop: Header=BB10_23 Depth=2
	v_add_nc_u32_e32 v12, -4, v12
	v_add_nc_u32_e32 v18, 1, v17
	s_mov_b32 s34, exec_lo
	v_cmp_eq_u32_e32 vcc_lo, 0, v12
	s_orn2_b32 s35, vcc_lo, exec_lo
	s_branch .LBB10_15
.LBB10_32:                              ;   in Loop: Header=BB10_14 Depth=1
	s_or_b32 exec_lo, exec_lo, s6
	s_xor_b32 s6, s7, -1
	s_and_saveexec_b32 s7, s6
	s_xor_b32 s6, exec_lo, s7
	s_cbranch_execz .LBB10_13
; %bb.33:                               ;   in Loop: Header=BB10_14 Depth=1
	v_lshl_add_u32 v9, v17, 2, v0
	ds_write_b32 v9, v8
	s_branch .LBB10_13
.LBB10_34:
	s_or_b32 exec_lo, exec_lo, s0
	s_mov_b32 s0, exec_lo
	s_waitcnt vmcnt(0) lgkmcnt(0)
	buffer_gl0_inv
	v_cmpx_lt_i32_e64 v7, v6
	s_cbranch_execz .LBB10_64
; %bb.35:
	v_add_nc_u32_e32 v17, 1, v13
	s_mov_b32 s1, 0
	s_branch .LBB10_38
.LBB10_36:                              ;   in Loop: Header=BB10_38 Depth=1
	s_or_b32 exec_lo, exec_lo, s7
	v_add_nc_u32_e32 v7, 1, v7
	v_cmp_ge_i32_e32 vcc_lo, v7, v6
	s_orn2_b32 s7, vcc_lo, exec_lo
.LBB10_37:                              ;   in Loop: Header=BB10_38 Depth=1
	s_or_b32 exec_lo, exec_lo, s6
	s_and_b32 s6, exec_lo, s7
	s_or_b32 s1, s6, s1
	s_andn2_b32 exec_lo, exec_lo, s1
	s_cbranch_execz .LBB10_64
.LBB10_38:                              ; =>This Loop Header: Depth=1
                                        ;     Child Loop BB10_39 Depth 2
                                        ;     Child Loop BB10_44 Depth 2
                                        ;       Child Loop BB10_53 Depth 3
	v_ashrrev_i32_e32 v8, 31, v7
	s_mov_b32 s6, 0
	v_lshlrev_b64 v[9:10], 2, v[7:8]
	v_add_co_u32 v11, vcc_lo, s10, v9
	v_add_co_ci_u32_e64 v12, null, s11, v10, vcc_lo
	v_add_co_u32 v9, vcc_lo, s12, v9
	v_add_co_ci_u32_e64 v10, null, s13, v10, vcc_lo
	global_load_dword v8, v[11:12], off
	s_waitcnt vmcnt(0)
	v_subrev_nc_u32_e32 v11, s2, v8
	v_ashrrev_i32_e32 v12, 31, v11
	v_lshlrev_b64 v[11:12], 2, v[11:12]
	v_add_co_u32 v20, vcc_lo, s8, v11
	v_add_co_ci_u32_e64 v21, null, s9, v12, vcc_lo
	v_add_co_u32 v22, vcc_lo, s14, v11
	v_add_co_ci_u32_e64 v23, null, s15, v12, vcc_lo
	global_load_dword v19, v[9:10], off
	global_load_dword v8, v[20:21], off offset:4
	global_load_dword v20, v[22:23], off
	v_add_co_u32 v11, vcc_lo, s16, v11
	v_add_co_ci_u32_e64 v12, null, s17, v12, vcc_lo
.LBB10_39:                              ;   Parent Loop BB10_38 Depth=1
                                        ; =>  This Inner Loop Header: Depth=2
	global_load_dword v18, v[11:12], off glc dlc
	s_waitcnt vmcnt(0)
	v_cmp_ne_u32_e32 vcc_lo, 0, v18
	s_or_b32 s6, vcc_lo, s6
	s_andn2_b32 exec_lo, exec_lo, s6
	s_cbranch_execnz .LBB10_39
; %bb.40:                               ;   in Loop: Header=BB10_38 Depth=1
	s_or_b32 exec_lo, exec_lo, s6
	v_subrev_nc_u32_e32 v18, s2, v8
	v_cmp_eq_u32_e32 vcc_lo, -1, v20
	buffer_gl1_inv
	buffer_gl0_inv
	s_mov_b32 s7, -1
	s_mov_b32 s6, exec_lo
	v_add_nc_u32_e32 v8, -1, v18
	v_cndmask_b32_e32 v11, v20, v8, vcc_lo
	v_ashrrev_i32_e32 v12, 31, v11
	v_lshlrev_b64 v[20:21], 2, v[11:12]
	v_add_co_u32 v20, vcc_lo, s12, v20
	v_add_co_ci_u32_e64 v21, null, s13, v21, vcc_lo
	global_load_dword v12, v[20:21], off
	s_waitcnt vmcnt(0)
	v_cmpx_neq_f32_e32 0, v12
	s_cbranch_execz .LBB10_37
; %bb.41:                               ;   in Loop: Header=BB10_38 Depth=1
	v_div_scale_f32 v8, null, v12, v12, v19
	s_mov_b32 s7, exec_lo
	v_rcp_f32_e32 v20, v8
	v_fma_f32 v21, -v8, v20, 1.0
	v_fmac_f32_e32 v20, v21, v20
	v_div_scale_f32 v21, vcc_lo, v19, v12, v19
	v_mul_f32_e32 v22, v21, v20
	v_fma_f32 v23, -v8, v22, v21
	v_fmac_f32_e32 v22, v23, v20
	v_fma_f32 v8, -v8, v22, v21
	v_div_fmas_f32 v20, v8, v20, v22
	v_add_nc_u32_e32 v8, v17, v11
	v_div_fixup_f32 v11, v20, v12, v19
	global_store_dword v[9:10], v11, off
	v_cmpx_lt_i32_e64 v8, v18
	s_cbranch_execz .LBB10_36
; %bb.42:                               ;   in Loop: Header=BB10_38 Depth=1
	s_mov_b32 s18, 0
	s_branch .LBB10_44
.LBB10_43:                              ;   in Loop: Header=BB10_44 Depth=2
	s_or_b32 exec_lo, exec_lo, s19
	v_add_nc_u32_e32 v8, 64, v8
	v_cmp_ge_i32_e32 vcc_lo, v8, v18
	s_or_b32 s18, vcc_lo, s18
	s_andn2_b32 exec_lo, exec_lo, s18
	s_cbranch_execz .LBB10_36
.LBB10_44:                              ;   Parent Loop BB10_38 Depth=1
                                        ; =>  This Loop Header: Depth=2
                                        ;       Child Loop BB10_53 Depth 3
	v_ashrrev_i32_e32 v9, 31, v8
	s_mov_b32 s19, 0
                                        ; implicit-def: $sgpr26
                                        ; implicit-def: $sgpr27
                                        ; implicit-def: $sgpr28
	v_lshlrev_b64 v[9:10], 2, v[8:9]
	v_add_co_u32 v19, vcc_lo, s10, v9
	v_add_co_ci_u32_e64 v20, null, s11, v10, vcc_lo
	global_load_dword v12, v[19:20], off
	v_mov_b32_e32 v19, 0x200
	s_waitcnt vmcnt(0)
	v_mul_lo_u32 v21, 0x67, v12
	s_branch .LBB10_53
.LBB10_45:                              ;   in Loop: Header=BB10_53 Depth=3
	s_or_b32 exec_lo, exec_lo, s39
	s_orn2_b32 s37, s37, exec_lo
	s_orn2_b32 s38, s38, exec_lo
.LBB10_46:                              ;   in Loop: Header=BB10_53 Depth=3
	s_or_b32 exec_lo, exec_lo, s36
	s_and_b32 s37, s37, exec_lo
	s_orn2_b32 s36, s38, exec_lo
.LBB10_47:                              ;   in Loop: Header=BB10_53 Depth=3
	s_or_b32 exec_lo, exec_lo, s35
	s_orn2_b32 s35, s37, exec_lo
	s_orn2_b32 s36, s36, exec_lo
.LBB10_48:                              ;   in Loop: Header=BB10_53 Depth=3
	s_or_b32 exec_lo, exec_lo, s34
	s_and_b32 s35, s35, exec_lo
	s_orn2_b32 s34, s36, exec_lo
.LBB10_49:                              ;   in Loop: Header=BB10_53 Depth=3
	s_or_b32 exec_lo, exec_lo, s33
	s_orn2_b32 s33, s35, exec_lo
	s_orn2_b32 s34, s34, exec_lo
.LBB10_50:                              ;   in Loop: Header=BB10_53 Depth=3
	s_or_b32 exec_lo, exec_lo, s31
	s_and_b32 s33, s33, exec_lo
	s_orn2_b32 s31, s34, exec_lo
.LBB10_51:                              ;   in Loop: Header=BB10_53 Depth=3
	s_or_b32 exec_lo, exec_lo, s30
	s_andn2_b32 s28, s28, exec_lo
	s_and_b32 s30, s33, exec_lo
	s_andn2_b32 s27, s27, exec_lo
	s_and_b32 s31, s31, exec_lo
	s_or_b32 s28, s28, s30
	s_or_b32 s27, s27, s31
.LBB10_52:                              ;   in Loop: Header=BB10_53 Depth=3
	s_or_b32 exec_lo, exec_lo, s29
	s_and_b32 s29, exec_lo, s27
	s_or_b32 s19, s29, s19
	s_andn2_b32 s26, s26, exec_lo
	s_and_b32 s29, s28, exec_lo
	s_or_b32 s26, s26, s29
	s_andn2_b32 exec_lo, exec_lo, s19
	s_cbranch_execz .LBB10_62
.LBB10_53:                              ;   Parent Loop BB10_38 Depth=1
                                        ;     Parent Loop BB10_44 Depth=2
                                        ; =>    This Inner Loop Header: Depth=3
	v_and_b32_e32 v20, 0x1ff, v21
	s_or_b32 s28, s28, exec_lo
	s_or_b32 s27, s27, exec_lo
	s_mov_b32 s29, exec_lo
	v_lshl_add_u32 v22, v20, 2, v16
	ds_read_b32 v22, v22
	s_waitcnt lgkmcnt(0)
	v_cmpx_ne_u32_e32 -1, v22
	s_cbranch_execz .LBB10_52
; %bb.54:                               ;   in Loop: Header=BB10_53 Depth=3
	s_mov_b32 s31, -1
	s_mov_b32 s33, 0
	s_mov_b32 s30, exec_lo
	v_cmpx_ne_u32_e64 v22, v12
	s_cbranch_execz .LBB10_51
; %bb.55:                               ;   in Loop: Header=BB10_53 Depth=3
	v_add_nc_u32_e32 v20, 1, v21
	s_mov_b32 s34, -1
	s_mov_b32 s33, -1
	s_mov_b32 s31, exec_lo
	v_and_b32_e32 v20, 0x1ff, v20
	v_lshl_add_u32 v22, v20, 2, v16
	ds_read_b32 v22, v22
	s_waitcnt lgkmcnt(0)
	v_cmpx_ne_u32_e32 -1, v22
	s_cbranch_execz .LBB10_50
; %bb.56:                               ;   in Loop: Header=BB10_53 Depth=3
	s_mov_b32 s35, 0
	s_mov_b32 s33, exec_lo
	v_cmpx_ne_u32_e64 v22, v12
	s_cbranch_execz .LBB10_49
; %bb.57:                               ;   in Loop: Header=BB10_53 Depth=3
	v_add_nc_u32_e32 v20, 2, v21
	s_mov_b32 s36, -1
	s_mov_b32 s35, -1
	s_mov_b32 s34, exec_lo
	v_and_b32_e32 v20, 0x1ff, v20
	v_lshl_add_u32 v22, v20, 2, v16
	ds_read_b32 v22, v22
	s_waitcnt lgkmcnt(0)
	v_cmpx_ne_u32_e32 -1, v22
	s_cbranch_execz .LBB10_48
; %bb.58:                               ;   in Loop: Header=BB10_53 Depth=3
	s_mov_b32 s37, 0
	s_mov_b32 s35, exec_lo
	v_cmpx_ne_u32_e64 v22, v12
	s_cbranch_execz .LBB10_47
; %bb.59:                               ;   in Loop: Header=BB10_53 Depth=3
	v_add_nc_u32_e32 v20, 3, v21
	s_mov_b32 s38, -1
	s_mov_b32 s37, -1
	s_mov_b32 s36, exec_lo
	v_and_b32_e32 v20, 0x1ff, v20
	v_lshl_add_u32 v21, v20, 2, v16
	ds_read_b32 v22, v21
                                        ; implicit-def: $vgpr21
	s_waitcnt lgkmcnt(0)
	v_cmpx_ne_u32_e32 -1, v22
	s_cbranch_execz .LBB10_46
; %bb.60:                               ;   in Loop: Header=BB10_53 Depth=3
	s_mov_b32 s37, 0
	s_mov_b32 s39, exec_lo
                                        ; implicit-def: $vgpr21
	v_cmpx_ne_u32_e64 v22, v12
	s_cbranch_execz .LBB10_45
; %bb.61:                               ;   in Loop: Header=BB10_53 Depth=3
	v_add_nc_u32_e32 v19, -4, v19
	v_add_nc_u32_e32 v21, 1, v20
	s_mov_b32 s37, exec_lo
	v_cmp_eq_u32_e32 vcc_lo, 0, v19
	s_orn2_b32 s38, vcc_lo, exec_lo
	s_branch .LBB10_45
.LBB10_62:                              ;   in Loop: Header=BB10_44 Depth=2
	s_or_b32 exec_lo, exec_lo, s19
	s_xor_b32 s19, s26, -1
	s_and_saveexec_b32 s26, s19
	s_xor_b32 s19, exec_lo, s26
	s_cbranch_execz .LBB10_43
; %bb.63:                               ;   in Loop: Header=BB10_44 Depth=2
	v_lshl_add_u32 v12, v20, 2, v0
	v_add_co_u32 v9, vcc_lo, s12, v9
	v_add_co_ci_u32_e64 v10, null, s13, v10, vcc_lo
	ds_read_b32 v19, v12
	s_waitcnt lgkmcnt(0)
	v_ashrrev_i32_e32 v20, 31, v19
	v_lshlrev_b64 v[19:20], 2, v[19:20]
	v_add_co_u32 v19, vcc_lo, s12, v19
	v_add_co_ci_u32_e64 v20, null, s13, v20, vcc_lo
	s_clause 0x1
	global_load_dword v9, v[9:10], off
	global_load_dword v10, v[19:20], off
	s_waitcnt vmcnt(0)
	v_fma_f32 v9, -v11, v9, v10
	global_store_dword v[19:20], v9, off
	s_branch .LBB10_43
.LBB10_64:
	s_or_b32 exec_lo, exec_lo, s0
	s_mov_b32 s6, -1
	s_mov_b32 s1, exec_lo
	s_waitcnt_vscnt null, 0x0
	buffer_gl0_inv
	v_cmpx_lt_i32_e32 -1, v6
	s_cbranch_execz .LBB10_80
; %bb.65:
	v_mov_b32_e32 v7, 0
	v_cmp_eq_u32_e64 s0, 0, v13
	v_lshlrev_b64 v[6:7], 2, v[6:7]
	v_add_co_u32 v8, vcc_lo, s12, v6
	v_add_co_ci_u32_e64 v9, null, s13, v7, vcc_lo
	global_load_dword v0, v[8:9], off
	s_waitcnt vmcnt(0)
	v_cmp_gt_f32_e32 vcc_lo, 0, v0
	v_cndmask_b32_e64 v6, v0, -v0, vcc_lo
	s_andn2_b32 vcc_lo, exec_lo, s3
	v_cvt_f64_f32_e32 v[6:7], v6
	s_cbranch_vccnz .LBB10_69
; %bb.66:
	v_cvt_f64_f32_e32 v[10:11], v14
	s_cmp_eq_u64 s[24:25], 8
	s_cselect_b32 vcc_lo, -1, 0
	v_cndmask_b32_e32 v4, v11, v4, vcc_lo
	v_cndmask_b32_e32 v3, v10, v3, vcc_lo
	v_cmp_ge_f64_e32 vcc_lo, v[3:4], v[6:7]
	s_and_b32 s6, s0, vcc_lo
	s_and_saveexec_b32 s3, s6
	s_cbranch_execz .LBB10_68
; %bb.67:
	global_store_dword v[8:9], v15, off
	s_waitcnt_vscnt null, 0x0
	buffer_gl1_inv
	buffer_gl0_inv
.LBB10_68:
	s_or_b32 exec_lo, exec_lo, s3
	s_mov_b32 s6, 0
.LBB10_69:
	s_andn2_b32 vcc_lo, exec_lo, s6
	s_cbranch_vccnz .LBB10_80
; %bb.70:
	s_load_dwordx2 s[4:5], s[4:5], 0x48
	v_add_nc_u32_e32 v3, s2, v5
	s_waitcnt lgkmcnt(0)
	v_cmp_ge_f64_e32 vcc_lo, s[4:5], v[6:7]
	s_and_b32 s3, s0, vcc_lo
	s_and_saveexec_b32 s2, s3
	s_cbranch_execz .LBB10_75
; %bb.71:
	s_mov_b32 s4, exec_lo
	s_brev_b32 s3, -2
.LBB10_72:                              ; =>This Inner Loop Header: Depth=1
	s_ff1_i32_b32 s5, s4
	v_readlane_b32 s6, v3, s5
	s_lshl_b32 s5, 1, s5
	s_andn2_b32 s4, s4, s5
	s_min_i32 s3, s3, s6
	s_cmp_lg_u32 s4, 0
	s_cbranch_scc1 .LBB10_72
; %bb.73:
	v_mbcnt_lo_u32_b32 v4, exec_lo, 0
	s_mov_b32 s4, exec_lo
	v_cmpx_eq_u32_e32 0, v4
	s_xor_b32 s4, exec_lo, s4
	s_cbranch_execz .LBB10_75
; %bb.74:
	v_mov_b32_e32 v4, 0
	v_mov_b32_e32 v5, s3
	global_atomic_smin v4, v5, s[22:23]
.LBB10_75:
	s_or_b32 exec_lo, exec_lo, s2
	v_cmp_eq_f32_e32 vcc_lo, 0, v0
	s_and_b32 s0, s0, vcc_lo
	s_and_b32 exec_lo, exec_lo, s0
	s_cbranch_execz .LBB10_80
; %bb.76:
	s_mov_b32 s2, exec_lo
	s_brev_b32 s0, -2
.LBB10_77:                              ; =>This Inner Loop Header: Depth=1
	s_ff1_i32_b32 s3, s2
	v_readlane_b32 s4, v3, s3
	s_lshl_b32 s3, 1, s3
	s_andn2_b32 s2, s2, s3
	s_min_i32 s0, s0, s4
	s_cmp_lg_u32 s2, 0
	s_cbranch_scc1 .LBB10_77
; %bb.78:
	v_mbcnt_lo_u32_b32 v0, exec_lo, 0
	s_mov_b32 s2, exec_lo
	v_cmpx_eq_u32_e32 0, v0
	s_xor_b32 s2, exec_lo, s2
	s_cbranch_execz .LBB10_80
; %bb.79:
	v_mov_b32_e32 v0, 0
	v_mov_b32_e32 v3, s0
	global_atomic_smin v0, v3, s[20:21]
.LBB10_80:
	s_or_b32 exec_lo, exec_lo, s1
	v_cmp_eq_u32_e32 vcc_lo, 0, v13
	s_waitcnt_vscnt null, 0x0
	buffer_gl1_inv
	buffer_gl0_inv
	s_and_b32 exec_lo, exec_lo, vcc_lo
	s_cbranch_execz .LBB10_82
; %bb.81:
	v_add_co_u32 v0, vcc_lo, s16, v1
	v_add_co_ci_u32_e64 v1, null, s17, v2, vcc_lo
	v_mov_b32_e32 v2, 1
	global_store_dword v[0:1], v2, off
.LBB10_82:
	s_endpgm
	.section	.rodata,"a",@progbits
	.p2align	6, 0x0
	.amdhsa_kernel _ZN9rocsparseL12csrilu0_hashILj256ELj64ELj8EfEEviPKiS2_PT2_S2_PiS2_S5_S5_d21rocsparse_index_base_imNS_24const_host_device_scalarIfEENS7_IdEENS7_IS3_EEb
		.amdhsa_group_segment_fixed_size 16384
		.amdhsa_private_segment_fixed_size 0
		.amdhsa_kernarg_size 124
		.amdhsa_user_sgpr_count 6
		.amdhsa_user_sgpr_private_segment_buffer 1
		.amdhsa_user_sgpr_dispatch_ptr 0
		.amdhsa_user_sgpr_queue_ptr 0
		.amdhsa_user_sgpr_kernarg_segment_ptr 1
		.amdhsa_user_sgpr_dispatch_id 0
		.amdhsa_user_sgpr_flat_scratch_init 0
		.amdhsa_user_sgpr_private_segment_size 0
		.amdhsa_wavefront_size32 1
		.amdhsa_uses_dynamic_stack 0
		.amdhsa_system_sgpr_private_segment_wavefront_offset 0
		.amdhsa_system_sgpr_workgroup_id_x 1
		.amdhsa_system_sgpr_workgroup_id_y 0
		.amdhsa_system_sgpr_workgroup_id_z 0
		.amdhsa_system_sgpr_workgroup_info 0
		.amdhsa_system_vgpr_workitem_id 0
		.amdhsa_next_free_vgpr 24
		.amdhsa_next_free_sgpr 40
		.amdhsa_reserve_vcc 1
		.amdhsa_reserve_flat_scratch 0
		.amdhsa_float_round_mode_32 0
		.amdhsa_float_round_mode_16_64 0
		.amdhsa_float_denorm_mode_32 3
		.amdhsa_float_denorm_mode_16_64 3
		.amdhsa_dx10_clamp 1
		.amdhsa_ieee_mode 1
		.amdhsa_fp16_overflow 0
		.amdhsa_workgroup_processor_mode 1
		.amdhsa_memory_ordered 1
		.amdhsa_forward_progress 1
		.amdhsa_shared_vgpr_count 0
		.amdhsa_exception_fp_ieee_invalid_op 0
		.amdhsa_exception_fp_denorm_src 0
		.amdhsa_exception_fp_ieee_div_zero 0
		.amdhsa_exception_fp_ieee_overflow 0
		.amdhsa_exception_fp_ieee_underflow 0
		.amdhsa_exception_fp_ieee_inexact 0
		.amdhsa_exception_int_div_zero 0
	.end_amdhsa_kernel
	.section	.text._ZN9rocsparseL12csrilu0_hashILj256ELj64ELj8EfEEviPKiS2_PT2_S2_PiS2_S5_S5_d21rocsparse_index_base_imNS_24const_host_device_scalarIfEENS7_IdEENS7_IS3_EEb,"axG",@progbits,_ZN9rocsparseL12csrilu0_hashILj256ELj64ELj8EfEEviPKiS2_PT2_S2_PiS2_S5_S5_d21rocsparse_index_base_imNS_24const_host_device_scalarIfEENS7_IdEENS7_IS3_EEb,comdat
.Lfunc_end10:
	.size	_ZN9rocsparseL12csrilu0_hashILj256ELj64ELj8EfEEviPKiS2_PT2_S2_PiS2_S5_S5_d21rocsparse_index_base_imNS_24const_host_device_scalarIfEENS7_IdEENS7_IS3_EEb, .Lfunc_end10-_ZN9rocsparseL12csrilu0_hashILj256ELj64ELj8EfEEviPKiS2_PT2_S2_PiS2_S5_S5_d21rocsparse_index_base_imNS_24const_host_device_scalarIfEENS7_IdEENS7_IS3_EEb
                                        ; -- End function
	.set _ZN9rocsparseL12csrilu0_hashILj256ELj64ELj8EfEEviPKiS2_PT2_S2_PiS2_S5_S5_d21rocsparse_index_base_imNS_24const_host_device_scalarIfEENS7_IdEENS7_IS3_EEb.num_vgpr, 24
	.set _ZN9rocsparseL12csrilu0_hashILj256ELj64ELj8EfEEviPKiS2_PT2_S2_PiS2_S5_S5_d21rocsparse_index_base_imNS_24const_host_device_scalarIfEENS7_IdEENS7_IS3_EEb.num_agpr, 0
	.set _ZN9rocsparseL12csrilu0_hashILj256ELj64ELj8EfEEviPKiS2_PT2_S2_PiS2_S5_S5_d21rocsparse_index_base_imNS_24const_host_device_scalarIfEENS7_IdEENS7_IS3_EEb.numbered_sgpr, 40
	.set _ZN9rocsparseL12csrilu0_hashILj256ELj64ELj8EfEEviPKiS2_PT2_S2_PiS2_S5_S5_d21rocsparse_index_base_imNS_24const_host_device_scalarIfEENS7_IdEENS7_IS3_EEb.num_named_barrier, 0
	.set _ZN9rocsparseL12csrilu0_hashILj256ELj64ELj8EfEEviPKiS2_PT2_S2_PiS2_S5_S5_d21rocsparse_index_base_imNS_24const_host_device_scalarIfEENS7_IdEENS7_IS3_EEb.private_seg_size, 0
	.set _ZN9rocsparseL12csrilu0_hashILj256ELj64ELj8EfEEviPKiS2_PT2_S2_PiS2_S5_S5_d21rocsparse_index_base_imNS_24const_host_device_scalarIfEENS7_IdEENS7_IS3_EEb.uses_vcc, 1
	.set _ZN9rocsparseL12csrilu0_hashILj256ELj64ELj8EfEEviPKiS2_PT2_S2_PiS2_S5_S5_d21rocsparse_index_base_imNS_24const_host_device_scalarIfEENS7_IdEENS7_IS3_EEb.uses_flat_scratch, 0
	.set _ZN9rocsparseL12csrilu0_hashILj256ELj64ELj8EfEEviPKiS2_PT2_S2_PiS2_S5_S5_d21rocsparse_index_base_imNS_24const_host_device_scalarIfEENS7_IdEENS7_IS3_EEb.has_dyn_sized_stack, 0
	.set _ZN9rocsparseL12csrilu0_hashILj256ELj64ELj8EfEEviPKiS2_PT2_S2_PiS2_S5_S5_d21rocsparse_index_base_imNS_24const_host_device_scalarIfEENS7_IdEENS7_IS3_EEb.has_recursion, 0
	.set _ZN9rocsparseL12csrilu0_hashILj256ELj64ELj8EfEEviPKiS2_PT2_S2_PiS2_S5_S5_d21rocsparse_index_base_imNS_24const_host_device_scalarIfEENS7_IdEENS7_IS3_EEb.has_indirect_call, 0
	.section	.AMDGPU.csdata,"",@progbits
; Kernel info:
; codeLenInByte = 2684
; TotalNumSgprs: 42
; NumVgprs: 24
; ScratchSize: 0
; MemoryBound: 0
; FloatMode: 240
; IeeeMode: 1
; LDSByteSize: 16384 bytes/workgroup (compile time only)
; SGPRBlocks: 0
; VGPRBlocks: 2
; NumSGPRsForWavesPerEU: 42
; NumVGPRsForWavesPerEU: 24
; Occupancy: 16
; WaveLimiterHint : 1
; COMPUTE_PGM_RSRC2:SCRATCH_EN: 0
; COMPUTE_PGM_RSRC2:USER_SGPR: 6
; COMPUTE_PGM_RSRC2:TRAP_HANDLER: 0
; COMPUTE_PGM_RSRC2:TGID_X_EN: 1
; COMPUTE_PGM_RSRC2:TGID_Y_EN: 0
; COMPUTE_PGM_RSRC2:TGID_Z_EN: 0
; COMPUTE_PGM_RSRC2:TIDIG_COMP_CNT: 0
	.section	.text._ZN9rocsparseL12csrilu0_hashILj256ELj64ELj16EfEEviPKiS2_PT2_S2_PiS2_S5_S5_d21rocsparse_index_base_imNS_24const_host_device_scalarIfEENS7_IdEENS7_IS3_EEb,"axG",@progbits,_ZN9rocsparseL12csrilu0_hashILj256ELj64ELj16EfEEviPKiS2_PT2_S2_PiS2_S5_S5_d21rocsparse_index_base_imNS_24const_host_device_scalarIfEENS7_IdEENS7_IS3_EEb,comdat
	.globl	_ZN9rocsparseL12csrilu0_hashILj256ELj64ELj16EfEEviPKiS2_PT2_S2_PiS2_S5_S5_d21rocsparse_index_base_imNS_24const_host_device_scalarIfEENS7_IdEENS7_IS3_EEb ; -- Begin function _ZN9rocsparseL12csrilu0_hashILj256ELj64ELj16EfEEviPKiS2_PT2_S2_PiS2_S5_S5_d21rocsparse_index_base_imNS_24const_host_device_scalarIfEENS7_IdEENS7_IS3_EEb
	.p2align	8
	.type	_ZN9rocsparseL12csrilu0_hashILj256ELj64ELj16EfEEviPKiS2_PT2_S2_PiS2_S5_S5_d21rocsparse_index_base_imNS_24const_host_device_scalarIfEENS7_IdEENS7_IS3_EEb,@function
_ZN9rocsparseL12csrilu0_hashILj256ELj64ELj16EfEEviPKiS2_PT2_S2_PiS2_S5_S5_d21rocsparse_index_base_imNS_24const_host_device_scalarIfEENS7_IdEENS7_IS3_EEb: ; @_ZN9rocsparseL12csrilu0_hashILj256ELj64ELj16EfEEviPKiS2_PT2_S2_PiS2_S5_S5_d21rocsparse_index_base_imNS_24const_host_device_scalarIfEENS7_IdEENS7_IS3_EEb
; %bb.0:
	s_clause 0x2
	s_load_dword s0, s[4:5], 0x78
	s_load_dwordx2 s[2:3], s[4:5], 0x50
	s_load_dwordx8 s[24:31], s[4:5], 0x58
	s_waitcnt lgkmcnt(0)
	s_bitcmp1_b32 s0, 0
	s_cselect_b32 s0, -1, 0
	s_cmp_eq_u32 s3, 0
	s_cselect_b32 s7, -1, 0
	s_cmp_lg_u32 s3, 0
	s_cselect_b32 s3, -1, 0
	s_or_b32 s9, s7, s0
	s_xor_b32 s8, s9, -1
	s_and_b32 s0, s7, exec_lo
	s_cselect_b32 s1, 0, s29
	s_cselect_b32 s0, 0, s28
	s_and_b32 vcc_lo, exec_lo, s9
	s_cbranch_vccnz .LBB11_2
; %bb.1:
	s_load_dword s0, s[26:27], 0x0
	s_waitcnt lgkmcnt(0)
	v_mov_b32_e32 v14, s0
	s_mov_b64 s[0:1], s[28:29]
	s_branch .LBB11_3
.LBB11_2:
	v_cndmask_b32_e64 v14, s26, 0, s7
.LBB11_3:
	v_mov_b32_e32 v4, s1
	v_cndmask_b32_e64 v1, 0, 1, s8
	v_mov_b32_e32 v3, s0
	s_andn2_b32 vcc_lo, exec_lo, s8
	s_cbranch_vccnz .LBB11_5
; %bb.4:
	v_mov_b32_e32 v2, s28
	v_mov_b32_e32 v3, s29
	flat_load_dwordx2 v[3:4], v[2:3]
.LBB11_5:
	v_cmp_ne_u32_e32 vcc_lo, 1, v1
	s_mov_b32 s0, 0
	s_cbranch_vccnz .LBB11_7
; %bb.6:
	s_load_dword s1, s[30:31], 0x0
	s_waitcnt lgkmcnt(0)
	v_mov_b32_e32 v15, s1
	s_branch .LBB11_8
.LBB11_7:
	v_cndmask_b32_e64 v15, s30, 0, s7
.LBB11_8:
	v_lshrrev_b32_e32 v1, 6, v0
	v_and_b32_e32 v13, 63, v0
	v_lshlrev_b32_e32 v5, 12, v1
	v_lshlrev_b32_e32 v6, 2, v13
	v_or_b32_e32 v2, 0xffffffc0, v13
	v_or3_b32 v5, v5, v6, 0x4000
	v_mov_b32_e32 v6, -1
.LBB11_9:                               ; =>This Inner Loop Header: Depth=1
	v_add_nc_u32_e32 v2, 64, v2
	ds_write_b32 v5, v6
	v_add_nc_u32_e32 v5, 0x100, v5
	v_cmp_lt_u32_e32 vcc_lo, 0x3bf, v2
	s_or_b32 s0, vcc_lo, s0
	s_andn2_b32 exec_lo, exec_lo, s0
	s_cbranch_execnz .LBB11_9
; %bb.10:
	s_or_b32 exec_lo, exec_lo, s0
	s_load_dword s0, s[4:5], 0x0
	s_lshl_b32 s1, s6, 2
	s_waitcnt vmcnt(0) lgkmcnt(0)
	buffer_gl0_inv
	v_and_or_b32 v1, 0x3fffffc, s1, v1
	v_cmp_gt_i32_e32 vcc_lo, s0, v1
	s_and_saveexec_b32 s0, vcc_lo
	s_cbranch_execz .LBB11_82
; %bb.11:
	s_load_dwordx16 s[8:23], s[4:5], 0x8
	v_lshlrev_b32_e32 v1, 2, v1
	v_lshlrev_b32_e32 v0, 6, v0
	s_mov_b32 s0, exec_lo
	v_and_b32_e32 v0, 0x3000, v0
	v_or_b32_e32 v16, 0x4000, v0
	s_waitcnt lgkmcnt(0)
	global_load_dword v5, v1, s[18:19]
	s_waitcnt vmcnt(0)
	v_ashrrev_i32_e32 v6, 31, v5
	v_lshlrev_b64 v[1:2], 2, v[5:6]
	v_add_co_u32 v6, vcc_lo, s8, v1
	v_add_co_ci_u32_e64 v7, null, s9, v2, vcc_lo
	v_add_co_u32 v9, vcc_lo, s14, v1
	v_add_co_ci_u32_e64 v10, null, s15, v2, vcc_lo
	global_load_dwordx2 v[7:8], v[6:7], off
	global_load_dword v6, v[9:10], off
	s_waitcnt vmcnt(1)
	v_subrev_nc_u32_e32 v7, s2, v7
	v_subrev_nc_u32_e32 v10, s2, v8
	v_add_nc_u32_e32 v8, v7, v13
	v_cmpx_lt_i32_e64 v8, v10
	s_cbranch_execz .LBB11_34
; %bb.12:
	v_mov_b32_e32 v11, -1
	s_mov_b32 s1, 0
	s_branch .LBB11_14
.LBB11_13:                              ;   in Loop: Header=BB11_14 Depth=1
	s_or_b32 exec_lo, exec_lo, s6
	v_add_nc_u32_e32 v8, 64, v8
	v_cmp_ge_i32_e32 vcc_lo, v8, v10
	s_or_b32 s1, vcc_lo, s1
	s_andn2_b32 exec_lo, exec_lo, s1
	s_cbranch_execz .LBB11_34
.LBB11_14:                              ; =>This Loop Header: Depth=1
                                        ;     Child Loop BB11_23 Depth 2
	v_ashrrev_i32_e32 v9, 31, v8
	v_mov_b32_e32 v12, 0x400
	s_mov_b32 s6, 0
                                        ; implicit-def: $sgpr7
                                        ; implicit-def: $sgpr18
                                        ; implicit-def: $sgpr19
	v_lshlrev_b64 v[17:18], 2, v[8:9]
	v_add_co_u32 v17, vcc_lo, s10, v17
	v_add_co_ci_u32_e64 v18, null, s11, v18, vcc_lo
	global_load_dword v9, v[17:18], off
	s_waitcnt vmcnt(0)
	v_mul_lo_u32 v18, 0x67, v9
	s_branch .LBB11_23
.LBB11_15:                              ;   in Loop: Header=BB11_23 Depth=2
	s_or_b32 exec_lo, exec_lo, s36
	s_orn2_b32 s34, s34, exec_lo
	s_orn2_b32 s35, s35, exec_lo
.LBB11_16:                              ;   in Loop: Header=BB11_23 Depth=2
	s_or_b32 exec_lo, exec_lo, s33
	s_and_b32 s34, s34, exec_lo
	s_orn2_b32 s33, s35, exec_lo
.LBB11_17:                              ;   in Loop: Header=BB11_23 Depth=2
	s_or_b32 exec_lo, exec_lo, s31
	s_orn2_b32 s31, s34, exec_lo
	s_orn2_b32 s33, s33, exec_lo
.LBB11_18:                              ;   in Loop: Header=BB11_23 Depth=2
	s_or_b32 exec_lo, exec_lo, s30
	s_and_b32 s31, s31, exec_lo
	s_orn2_b32 s30, s33, exec_lo
.LBB11_19:                              ;   in Loop: Header=BB11_23 Depth=2
	s_or_b32 exec_lo, exec_lo, s29
	s_orn2_b32 s29, s31, exec_lo
	s_orn2_b32 s30, s30, exec_lo
.LBB11_20:                              ;   in Loop: Header=BB11_23 Depth=2
	s_or_b32 exec_lo, exec_lo, s28
	s_and_b32 s29, s29, exec_lo
	s_orn2_b32 s28, s30, exec_lo
.LBB11_21:                              ;   in Loop: Header=BB11_23 Depth=2
	s_or_b32 exec_lo, exec_lo, s27
	s_andn2_b32 s19, s19, exec_lo
	s_and_b32 s27, s29, exec_lo
	s_andn2_b32 s18, s18, exec_lo
	s_and_b32 s28, s28, exec_lo
	s_or_b32 s19, s19, s27
	s_or_b32 s18, s18, s28
.LBB11_22:                              ;   in Loop: Header=BB11_23 Depth=2
	s_or_b32 exec_lo, exec_lo, s26
	s_and_b32 s26, exec_lo, s18
	s_or_b32 s6, s26, s6
	s_andn2_b32 s7, s7, exec_lo
	s_and_b32 s26, s19, exec_lo
	s_or_b32 s7, s7, s26
	s_andn2_b32 exec_lo, exec_lo, s6
	s_cbranch_execz .LBB11_32
.LBB11_23:                              ;   Parent Loop BB11_14 Depth=1
                                        ; =>  This Inner Loop Header: Depth=2
	v_and_b32_e32 v17, 0x3ff, v18
	s_or_b32 s19, s19, exec_lo
	s_or_b32 s18, s18, exec_lo
	s_mov_b32 s26, exec_lo
	v_lshl_add_u32 v19, v17, 2, v16
	ds_read_b32 v20, v19
	s_waitcnt lgkmcnt(0)
	v_cmpx_ne_u32_e64 v20, v9
	s_cbranch_execz .LBB11_22
; %bb.24:                               ;   in Loop: Header=BB11_23 Depth=2
	ds_cmpst_rtn_b32 v19, v19, v11, v9
	s_mov_b32 s28, -1
	s_mov_b32 s29, 0
	s_mov_b32 s27, exec_lo
	s_waitcnt lgkmcnt(0)
	v_cmpx_ne_u32_e32 -1, v19
	s_cbranch_execz .LBB11_21
; %bb.25:                               ;   in Loop: Header=BB11_23 Depth=2
	v_add_nc_u32_e32 v17, 1, v18
	s_mov_b32 s30, -1
	s_mov_b32 s29, -1
	s_mov_b32 s28, exec_lo
	v_and_b32_e32 v17, 0x3ff, v17
	v_lshl_add_u32 v19, v17, 2, v16
	ds_read_b32 v20, v19
	s_waitcnt lgkmcnt(0)
	v_cmpx_ne_u32_e64 v20, v9
	s_cbranch_execz .LBB11_20
; %bb.26:                               ;   in Loop: Header=BB11_23 Depth=2
	ds_cmpst_rtn_b32 v19, v19, v11, v9
	s_mov_b32 s31, 0
	s_mov_b32 s29, exec_lo
	s_waitcnt lgkmcnt(0)
	v_cmpx_ne_u32_e32 -1, v19
	s_cbranch_execz .LBB11_19
; %bb.27:                               ;   in Loop: Header=BB11_23 Depth=2
	v_add_nc_u32_e32 v17, 2, v18
	s_mov_b32 s33, -1
	s_mov_b32 s31, -1
	s_mov_b32 s30, exec_lo
	v_and_b32_e32 v17, 0x3ff, v17
	v_lshl_add_u32 v19, v17, 2, v16
	ds_read_b32 v20, v19
	s_waitcnt lgkmcnt(0)
	v_cmpx_ne_u32_e64 v20, v9
	s_cbranch_execz .LBB11_18
; %bb.28:                               ;   in Loop: Header=BB11_23 Depth=2
	ds_cmpst_rtn_b32 v19, v19, v11, v9
	s_mov_b32 s34, 0
	s_mov_b32 s31, exec_lo
	s_waitcnt lgkmcnt(0)
	v_cmpx_ne_u32_e32 -1, v19
	s_cbranch_execz .LBB11_17
; %bb.29:                               ;   in Loop: Header=BB11_23 Depth=2
	v_add_nc_u32_e32 v17, 3, v18
	s_mov_b32 s35, -1
	s_mov_b32 s34, -1
	v_and_b32_e32 v17, 0x3ff, v17
	v_lshl_add_u32 v19, v17, 2, v16
	ds_read_b32 v18, v19
	s_waitcnt lgkmcnt(0)
	v_cmp_ne_u32_e32 vcc_lo, v18, v9
                                        ; implicit-def: $vgpr18
	s_and_saveexec_b32 s33, vcc_lo
	s_cbranch_execz .LBB11_16
; %bb.30:                               ;   in Loop: Header=BB11_23 Depth=2
	ds_cmpst_rtn_b32 v18, v19, v11, v9
	s_mov_b32 s34, 0
	s_waitcnt lgkmcnt(0)
	v_cmp_ne_u32_e32 vcc_lo, -1, v18
                                        ; implicit-def: $vgpr18
	s_and_saveexec_b32 s36, vcc_lo
	s_cbranch_execz .LBB11_15
; %bb.31:                               ;   in Loop: Header=BB11_23 Depth=2
	v_add_nc_u32_e32 v12, -4, v12
	v_add_nc_u32_e32 v18, 1, v17
	s_mov_b32 s34, exec_lo
	v_cmp_eq_u32_e32 vcc_lo, 0, v12
	s_orn2_b32 s35, vcc_lo, exec_lo
	s_branch .LBB11_15
.LBB11_32:                              ;   in Loop: Header=BB11_14 Depth=1
	s_or_b32 exec_lo, exec_lo, s6
	s_xor_b32 s6, s7, -1
	s_and_saveexec_b32 s7, s6
	s_xor_b32 s6, exec_lo, s7
	s_cbranch_execz .LBB11_13
; %bb.33:                               ;   in Loop: Header=BB11_14 Depth=1
	v_lshl_add_u32 v9, v17, 2, v0
	ds_write_b32 v9, v8
	s_branch .LBB11_13
.LBB11_34:
	s_or_b32 exec_lo, exec_lo, s0
	s_mov_b32 s0, exec_lo
	s_waitcnt vmcnt(0) lgkmcnt(0)
	buffer_gl0_inv
	v_cmpx_lt_i32_e64 v7, v6
	s_cbranch_execz .LBB11_64
; %bb.35:
	v_add_nc_u32_e32 v17, 1, v13
	s_mov_b32 s1, 0
	s_branch .LBB11_38
.LBB11_36:                              ;   in Loop: Header=BB11_38 Depth=1
	s_or_b32 exec_lo, exec_lo, s7
	v_add_nc_u32_e32 v7, 1, v7
	v_cmp_ge_i32_e32 vcc_lo, v7, v6
	s_orn2_b32 s7, vcc_lo, exec_lo
.LBB11_37:                              ;   in Loop: Header=BB11_38 Depth=1
	s_or_b32 exec_lo, exec_lo, s6
	s_and_b32 s6, exec_lo, s7
	s_or_b32 s1, s6, s1
	s_andn2_b32 exec_lo, exec_lo, s1
	s_cbranch_execz .LBB11_64
.LBB11_38:                              ; =>This Loop Header: Depth=1
                                        ;     Child Loop BB11_39 Depth 2
                                        ;     Child Loop BB11_44 Depth 2
                                        ;       Child Loop BB11_53 Depth 3
	v_ashrrev_i32_e32 v8, 31, v7
	s_mov_b32 s6, 0
	v_lshlrev_b64 v[9:10], 2, v[7:8]
	v_add_co_u32 v11, vcc_lo, s10, v9
	v_add_co_ci_u32_e64 v12, null, s11, v10, vcc_lo
	v_add_co_u32 v9, vcc_lo, s12, v9
	v_add_co_ci_u32_e64 v10, null, s13, v10, vcc_lo
	global_load_dword v8, v[11:12], off
	s_waitcnt vmcnt(0)
	v_subrev_nc_u32_e32 v11, s2, v8
	v_ashrrev_i32_e32 v12, 31, v11
	v_lshlrev_b64 v[11:12], 2, v[11:12]
	v_add_co_u32 v20, vcc_lo, s8, v11
	v_add_co_ci_u32_e64 v21, null, s9, v12, vcc_lo
	v_add_co_u32 v22, vcc_lo, s14, v11
	v_add_co_ci_u32_e64 v23, null, s15, v12, vcc_lo
	global_load_dword v19, v[9:10], off
	global_load_dword v8, v[20:21], off offset:4
	global_load_dword v20, v[22:23], off
	v_add_co_u32 v11, vcc_lo, s16, v11
	v_add_co_ci_u32_e64 v12, null, s17, v12, vcc_lo
.LBB11_39:                              ;   Parent Loop BB11_38 Depth=1
                                        ; =>  This Inner Loop Header: Depth=2
	global_load_dword v18, v[11:12], off glc dlc
	s_waitcnt vmcnt(0)
	v_cmp_ne_u32_e32 vcc_lo, 0, v18
	s_or_b32 s6, vcc_lo, s6
	s_andn2_b32 exec_lo, exec_lo, s6
	s_cbranch_execnz .LBB11_39
; %bb.40:                               ;   in Loop: Header=BB11_38 Depth=1
	s_or_b32 exec_lo, exec_lo, s6
	v_subrev_nc_u32_e32 v18, s2, v8
	v_cmp_eq_u32_e32 vcc_lo, -1, v20
	buffer_gl1_inv
	buffer_gl0_inv
	s_mov_b32 s7, -1
	s_mov_b32 s6, exec_lo
	v_add_nc_u32_e32 v8, -1, v18
	v_cndmask_b32_e32 v11, v20, v8, vcc_lo
	v_ashrrev_i32_e32 v12, 31, v11
	v_lshlrev_b64 v[20:21], 2, v[11:12]
	v_add_co_u32 v20, vcc_lo, s12, v20
	v_add_co_ci_u32_e64 v21, null, s13, v21, vcc_lo
	global_load_dword v12, v[20:21], off
	s_waitcnt vmcnt(0)
	v_cmpx_neq_f32_e32 0, v12
	s_cbranch_execz .LBB11_37
; %bb.41:                               ;   in Loop: Header=BB11_38 Depth=1
	v_div_scale_f32 v8, null, v12, v12, v19
	s_mov_b32 s7, exec_lo
	v_rcp_f32_e32 v20, v8
	v_fma_f32 v21, -v8, v20, 1.0
	v_fmac_f32_e32 v20, v21, v20
	v_div_scale_f32 v21, vcc_lo, v19, v12, v19
	v_mul_f32_e32 v22, v21, v20
	v_fma_f32 v23, -v8, v22, v21
	v_fmac_f32_e32 v22, v23, v20
	v_fma_f32 v8, -v8, v22, v21
	v_div_fmas_f32 v20, v8, v20, v22
	v_add_nc_u32_e32 v8, v17, v11
	v_div_fixup_f32 v11, v20, v12, v19
	global_store_dword v[9:10], v11, off
	v_cmpx_lt_i32_e64 v8, v18
	s_cbranch_execz .LBB11_36
; %bb.42:                               ;   in Loop: Header=BB11_38 Depth=1
	s_mov_b32 s18, 0
	s_branch .LBB11_44
.LBB11_43:                              ;   in Loop: Header=BB11_44 Depth=2
	s_or_b32 exec_lo, exec_lo, s19
	v_add_nc_u32_e32 v8, 64, v8
	v_cmp_ge_i32_e32 vcc_lo, v8, v18
	s_or_b32 s18, vcc_lo, s18
	s_andn2_b32 exec_lo, exec_lo, s18
	s_cbranch_execz .LBB11_36
.LBB11_44:                              ;   Parent Loop BB11_38 Depth=1
                                        ; =>  This Loop Header: Depth=2
                                        ;       Child Loop BB11_53 Depth 3
	v_ashrrev_i32_e32 v9, 31, v8
	s_mov_b32 s19, 0
                                        ; implicit-def: $sgpr26
                                        ; implicit-def: $sgpr27
                                        ; implicit-def: $sgpr28
	v_lshlrev_b64 v[9:10], 2, v[8:9]
	v_add_co_u32 v19, vcc_lo, s10, v9
	v_add_co_ci_u32_e64 v20, null, s11, v10, vcc_lo
	global_load_dword v12, v[19:20], off
	v_mov_b32_e32 v19, 0x400
	s_waitcnt vmcnt(0)
	v_mul_lo_u32 v21, 0x67, v12
	s_branch .LBB11_53
.LBB11_45:                              ;   in Loop: Header=BB11_53 Depth=3
	s_or_b32 exec_lo, exec_lo, s39
	s_orn2_b32 s37, s37, exec_lo
	s_orn2_b32 s38, s38, exec_lo
.LBB11_46:                              ;   in Loop: Header=BB11_53 Depth=3
	s_or_b32 exec_lo, exec_lo, s36
	s_and_b32 s37, s37, exec_lo
	s_orn2_b32 s36, s38, exec_lo
.LBB11_47:                              ;   in Loop: Header=BB11_53 Depth=3
	s_or_b32 exec_lo, exec_lo, s35
	s_orn2_b32 s35, s37, exec_lo
	s_orn2_b32 s36, s36, exec_lo
.LBB11_48:                              ;   in Loop: Header=BB11_53 Depth=3
	s_or_b32 exec_lo, exec_lo, s34
	s_and_b32 s35, s35, exec_lo
	s_orn2_b32 s34, s36, exec_lo
.LBB11_49:                              ;   in Loop: Header=BB11_53 Depth=3
	s_or_b32 exec_lo, exec_lo, s33
	s_orn2_b32 s33, s35, exec_lo
	s_orn2_b32 s34, s34, exec_lo
.LBB11_50:                              ;   in Loop: Header=BB11_53 Depth=3
	s_or_b32 exec_lo, exec_lo, s31
	s_and_b32 s33, s33, exec_lo
	s_orn2_b32 s31, s34, exec_lo
.LBB11_51:                              ;   in Loop: Header=BB11_53 Depth=3
	s_or_b32 exec_lo, exec_lo, s30
	s_andn2_b32 s28, s28, exec_lo
	s_and_b32 s30, s33, exec_lo
	s_andn2_b32 s27, s27, exec_lo
	s_and_b32 s31, s31, exec_lo
	s_or_b32 s28, s28, s30
	s_or_b32 s27, s27, s31
.LBB11_52:                              ;   in Loop: Header=BB11_53 Depth=3
	s_or_b32 exec_lo, exec_lo, s29
	s_and_b32 s29, exec_lo, s27
	s_or_b32 s19, s29, s19
	s_andn2_b32 s26, s26, exec_lo
	s_and_b32 s29, s28, exec_lo
	s_or_b32 s26, s26, s29
	s_andn2_b32 exec_lo, exec_lo, s19
	s_cbranch_execz .LBB11_62
.LBB11_53:                              ;   Parent Loop BB11_38 Depth=1
                                        ;     Parent Loop BB11_44 Depth=2
                                        ; =>    This Inner Loop Header: Depth=3
	v_and_b32_e32 v20, 0x3ff, v21
	s_or_b32 s28, s28, exec_lo
	s_or_b32 s27, s27, exec_lo
	s_mov_b32 s29, exec_lo
	v_lshl_add_u32 v22, v20, 2, v16
	ds_read_b32 v22, v22
	s_waitcnt lgkmcnt(0)
	v_cmpx_ne_u32_e32 -1, v22
	s_cbranch_execz .LBB11_52
; %bb.54:                               ;   in Loop: Header=BB11_53 Depth=3
	s_mov_b32 s31, -1
	s_mov_b32 s33, 0
	s_mov_b32 s30, exec_lo
	v_cmpx_ne_u32_e64 v22, v12
	s_cbranch_execz .LBB11_51
; %bb.55:                               ;   in Loop: Header=BB11_53 Depth=3
	v_add_nc_u32_e32 v20, 1, v21
	s_mov_b32 s34, -1
	s_mov_b32 s33, -1
	s_mov_b32 s31, exec_lo
	v_and_b32_e32 v20, 0x3ff, v20
	v_lshl_add_u32 v22, v20, 2, v16
	ds_read_b32 v22, v22
	s_waitcnt lgkmcnt(0)
	v_cmpx_ne_u32_e32 -1, v22
	s_cbranch_execz .LBB11_50
; %bb.56:                               ;   in Loop: Header=BB11_53 Depth=3
	s_mov_b32 s35, 0
	s_mov_b32 s33, exec_lo
	v_cmpx_ne_u32_e64 v22, v12
	s_cbranch_execz .LBB11_49
; %bb.57:                               ;   in Loop: Header=BB11_53 Depth=3
	v_add_nc_u32_e32 v20, 2, v21
	s_mov_b32 s36, -1
	s_mov_b32 s35, -1
	s_mov_b32 s34, exec_lo
	v_and_b32_e32 v20, 0x3ff, v20
	v_lshl_add_u32 v22, v20, 2, v16
	ds_read_b32 v22, v22
	s_waitcnt lgkmcnt(0)
	v_cmpx_ne_u32_e32 -1, v22
	s_cbranch_execz .LBB11_48
; %bb.58:                               ;   in Loop: Header=BB11_53 Depth=3
	s_mov_b32 s37, 0
	s_mov_b32 s35, exec_lo
	v_cmpx_ne_u32_e64 v22, v12
	s_cbranch_execz .LBB11_47
; %bb.59:                               ;   in Loop: Header=BB11_53 Depth=3
	v_add_nc_u32_e32 v20, 3, v21
	s_mov_b32 s38, -1
	s_mov_b32 s37, -1
	s_mov_b32 s36, exec_lo
	v_and_b32_e32 v20, 0x3ff, v20
	v_lshl_add_u32 v21, v20, 2, v16
	ds_read_b32 v22, v21
                                        ; implicit-def: $vgpr21
	s_waitcnt lgkmcnt(0)
	v_cmpx_ne_u32_e32 -1, v22
	s_cbranch_execz .LBB11_46
; %bb.60:                               ;   in Loop: Header=BB11_53 Depth=3
	s_mov_b32 s37, 0
	s_mov_b32 s39, exec_lo
                                        ; implicit-def: $vgpr21
	v_cmpx_ne_u32_e64 v22, v12
	s_cbranch_execz .LBB11_45
; %bb.61:                               ;   in Loop: Header=BB11_53 Depth=3
	v_add_nc_u32_e32 v19, -4, v19
	v_add_nc_u32_e32 v21, 1, v20
	s_mov_b32 s37, exec_lo
	v_cmp_eq_u32_e32 vcc_lo, 0, v19
	s_orn2_b32 s38, vcc_lo, exec_lo
	s_branch .LBB11_45
.LBB11_62:                              ;   in Loop: Header=BB11_44 Depth=2
	s_or_b32 exec_lo, exec_lo, s19
	s_xor_b32 s19, s26, -1
	s_and_saveexec_b32 s26, s19
	s_xor_b32 s19, exec_lo, s26
	s_cbranch_execz .LBB11_43
; %bb.63:                               ;   in Loop: Header=BB11_44 Depth=2
	v_lshl_add_u32 v12, v20, 2, v0
	v_add_co_u32 v9, vcc_lo, s12, v9
	v_add_co_ci_u32_e64 v10, null, s13, v10, vcc_lo
	ds_read_b32 v19, v12
	s_waitcnt lgkmcnt(0)
	v_ashrrev_i32_e32 v20, 31, v19
	v_lshlrev_b64 v[19:20], 2, v[19:20]
	v_add_co_u32 v19, vcc_lo, s12, v19
	v_add_co_ci_u32_e64 v20, null, s13, v20, vcc_lo
	s_clause 0x1
	global_load_dword v9, v[9:10], off
	global_load_dword v10, v[19:20], off
	s_waitcnt vmcnt(0)
	v_fma_f32 v9, -v11, v9, v10
	global_store_dword v[19:20], v9, off
	s_branch .LBB11_43
.LBB11_64:
	s_or_b32 exec_lo, exec_lo, s0
	s_mov_b32 s6, -1
	s_mov_b32 s1, exec_lo
	s_waitcnt_vscnt null, 0x0
	buffer_gl0_inv
	v_cmpx_lt_i32_e32 -1, v6
	s_cbranch_execz .LBB11_80
; %bb.65:
	v_mov_b32_e32 v7, 0
	v_cmp_eq_u32_e64 s0, 0, v13
	v_lshlrev_b64 v[6:7], 2, v[6:7]
	v_add_co_u32 v8, vcc_lo, s12, v6
	v_add_co_ci_u32_e64 v9, null, s13, v7, vcc_lo
	global_load_dword v0, v[8:9], off
	s_waitcnt vmcnt(0)
	v_cmp_gt_f32_e32 vcc_lo, 0, v0
	v_cndmask_b32_e64 v6, v0, -v0, vcc_lo
	s_andn2_b32 vcc_lo, exec_lo, s3
	v_cvt_f64_f32_e32 v[6:7], v6
	s_cbranch_vccnz .LBB11_69
; %bb.66:
	v_cvt_f64_f32_e32 v[10:11], v14
	s_cmp_eq_u64 s[24:25], 8
	s_cselect_b32 vcc_lo, -1, 0
	v_cndmask_b32_e32 v4, v11, v4, vcc_lo
	v_cndmask_b32_e32 v3, v10, v3, vcc_lo
	v_cmp_ge_f64_e32 vcc_lo, v[3:4], v[6:7]
	s_and_b32 s6, s0, vcc_lo
	s_and_saveexec_b32 s3, s6
	s_cbranch_execz .LBB11_68
; %bb.67:
	global_store_dword v[8:9], v15, off
	s_waitcnt_vscnt null, 0x0
	buffer_gl1_inv
	buffer_gl0_inv
.LBB11_68:
	s_or_b32 exec_lo, exec_lo, s3
	s_mov_b32 s6, 0
.LBB11_69:
	s_andn2_b32 vcc_lo, exec_lo, s6
	s_cbranch_vccnz .LBB11_80
; %bb.70:
	s_load_dwordx2 s[4:5], s[4:5], 0x48
	v_add_nc_u32_e32 v3, s2, v5
	s_waitcnt lgkmcnt(0)
	v_cmp_ge_f64_e32 vcc_lo, s[4:5], v[6:7]
	s_and_b32 s3, s0, vcc_lo
	s_and_saveexec_b32 s2, s3
	s_cbranch_execz .LBB11_75
; %bb.71:
	s_mov_b32 s4, exec_lo
	s_brev_b32 s3, -2
.LBB11_72:                              ; =>This Inner Loop Header: Depth=1
	s_ff1_i32_b32 s5, s4
	v_readlane_b32 s6, v3, s5
	s_lshl_b32 s5, 1, s5
	s_andn2_b32 s4, s4, s5
	s_min_i32 s3, s3, s6
	s_cmp_lg_u32 s4, 0
	s_cbranch_scc1 .LBB11_72
; %bb.73:
	v_mbcnt_lo_u32_b32 v4, exec_lo, 0
	s_mov_b32 s4, exec_lo
	v_cmpx_eq_u32_e32 0, v4
	s_xor_b32 s4, exec_lo, s4
	s_cbranch_execz .LBB11_75
; %bb.74:
	v_mov_b32_e32 v4, 0
	v_mov_b32_e32 v5, s3
	global_atomic_smin v4, v5, s[22:23]
.LBB11_75:
	s_or_b32 exec_lo, exec_lo, s2
	v_cmp_eq_f32_e32 vcc_lo, 0, v0
	s_and_b32 s0, s0, vcc_lo
	s_and_b32 exec_lo, exec_lo, s0
	s_cbranch_execz .LBB11_80
; %bb.76:
	s_mov_b32 s2, exec_lo
	s_brev_b32 s0, -2
.LBB11_77:                              ; =>This Inner Loop Header: Depth=1
	s_ff1_i32_b32 s3, s2
	v_readlane_b32 s4, v3, s3
	s_lshl_b32 s3, 1, s3
	s_andn2_b32 s2, s2, s3
	s_min_i32 s0, s0, s4
	s_cmp_lg_u32 s2, 0
	s_cbranch_scc1 .LBB11_77
; %bb.78:
	v_mbcnt_lo_u32_b32 v0, exec_lo, 0
	s_mov_b32 s2, exec_lo
	v_cmpx_eq_u32_e32 0, v0
	s_xor_b32 s2, exec_lo, s2
	s_cbranch_execz .LBB11_80
; %bb.79:
	v_mov_b32_e32 v0, 0
	v_mov_b32_e32 v3, s0
	global_atomic_smin v0, v3, s[20:21]
.LBB11_80:
	s_or_b32 exec_lo, exec_lo, s1
	v_cmp_eq_u32_e32 vcc_lo, 0, v13
	s_waitcnt_vscnt null, 0x0
	buffer_gl1_inv
	buffer_gl0_inv
	s_and_b32 exec_lo, exec_lo, vcc_lo
	s_cbranch_execz .LBB11_82
; %bb.81:
	v_add_co_u32 v0, vcc_lo, s16, v1
	v_add_co_ci_u32_e64 v1, null, s17, v2, vcc_lo
	v_mov_b32_e32 v2, 1
	global_store_dword v[0:1], v2, off
.LBB11_82:
	s_endpgm
	.section	.rodata,"a",@progbits
	.p2align	6, 0x0
	.amdhsa_kernel _ZN9rocsparseL12csrilu0_hashILj256ELj64ELj16EfEEviPKiS2_PT2_S2_PiS2_S5_S5_d21rocsparse_index_base_imNS_24const_host_device_scalarIfEENS7_IdEENS7_IS3_EEb
		.amdhsa_group_segment_fixed_size 32768
		.amdhsa_private_segment_fixed_size 0
		.amdhsa_kernarg_size 124
		.amdhsa_user_sgpr_count 6
		.amdhsa_user_sgpr_private_segment_buffer 1
		.amdhsa_user_sgpr_dispatch_ptr 0
		.amdhsa_user_sgpr_queue_ptr 0
		.amdhsa_user_sgpr_kernarg_segment_ptr 1
		.amdhsa_user_sgpr_dispatch_id 0
		.amdhsa_user_sgpr_flat_scratch_init 0
		.amdhsa_user_sgpr_private_segment_size 0
		.amdhsa_wavefront_size32 1
		.amdhsa_uses_dynamic_stack 0
		.amdhsa_system_sgpr_private_segment_wavefront_offset 0
		.amdhsa_system_sgpr_workgroup_id_x 1
		.amdhsa_system_sgpr_workgroup_id_y 0
		.amdhsa_system_sgpr_workgroup_id_z 0
		.amdhsa_system_sgpr_workgroup_info 0
		.amdhsa_system_vgpr_workitem_id 0
		.amdhsa_next_free_vgpr 113
		.amdhsa_next_free_sgpr 40
		.amdhsa_reserve_vcc 1
		.amdhsa_reserve_flat_scratch 0
		.amdhsa_float_round_mode_32 0
		.amdhsa_float_round_mode_16_64 0
		.amdhsa_float_denorm_mode_32 3
		.amdhsa_float_denorm_mode_16_64 3
		.amdhsa_dx10_clamp 1
		.amdhsa_ieee_mode 1
		.amdhsa_fp16_overflow 0
		.amdhsa_workgroup_processor_mode 1
		.amdhsa_memory_ordered 1
		.amdhsa_forward_progress 1
		.amdhsa_shared_vgpr_count 0
		.amdhsa_exception_fp_ieee_invalid_op 0
		.amdhsa_exception_fp_denorm_src 0
		.amdhsa_exception_fp_ieee_div_zero 0
		.amdhsa_exception_fp_ieee_overflow 0
		.amdhsa_exception_fp_ieee_underflow 0
		.amdhsa_exception_fp_ieee_inexact 0
		.amdhsa_exception_int_div_zero 0
	.end_amdhsa_kernel
	.section	.text._ZN9rocsparseL12csrilu0_hashILj256ELj64ELj16EfEEviPKiS2_PT2_S2_PiS2_S5_S5_d21rocsparse_index_base_imNS_24const_host_device_scalarIfEENS7_IdEENS7_IS3_EEb,"axG",@progbits,_ZN9rocsparseL12csrilu0_hashILj256ELj64ELj16EfEEviPKiS2_PT2_S2_PiS2_S5_S5_d21rocsparse_index_base_imNS_24const_host_device_scalarIfEENS7_IdEENS7_IS3_EEb,comdat
.Lfunc_end11:
	.size	_ZN9rocsparseL12csrilu0_hashILj256ELj64ELj16EfEEviPKiS2_PT2_S2_PiS2_S5_S5_d21rocsparse_index_base_imNS_24const_host_device_scalarIfEENS7_IdEENS7_IS3_EEb, .Lfunc_end11-_ZN9rocsparseL12csrilu0_hashILj256ELj64ELj16EfEEviPKiS2_PT2_S2_PiS2_S5_S5_d21rocsparse_index_base_imNS_24const_host_device_scalarIfEENS7_IdEENS7_IS3_EEb
                                        ; -- End function
	.set _ZN9rocsparseL12csrilu0_hashILj256ELj64ELj16EfEEviPKiS2_PT2_S2_PiS2_S5_S5_d21rocsparse_index_base_imNS_24const_host_device_scalarIfEENS7_IdEENS7_IS3_EEb.num_vgpr, 24
	.set _ZN9rocsparseL12csrilu0_hashILj256ELj64ELj16EfEEviPKiS2_PT2_S2_PiS2_S5_S5_d21rocsparse_index_base_imNS_24const_host_device_scalarIfEENS7_IdEENS7_IS3_EEb.num_agpr, 0
	.set _ZN9rocsparseL12csrilu0_hashILj256ELj64ELj16EfEEviPKiS2_PT2_S2_PiS2_S5_S5_d21rocsparse_index_base_imNS_24const_host_device_scalarIfEENS7_IdEENS7_IS3_EEb.numbered_sgpr, 40
	.set _ZN9rocsparseL12csrilu0_hashILj256ELj64ELj16EfEEviPKiS2_PT2_S2_PiS2_S5_S5_d21rocsparse_index_base_imNS_24const_host_device_scalarIfEENS7_IdEENS7_IS3_EEb.num_named_barrier, 0
	.set _ZN9rocsparseL12csrilu0_hashILj256ELj64ELj16EfEEviPKiS2_PT2_S2_PiS2_S5_S5_d21rocsparse_index_base_imNS_24const_host_device_scalarIfEENS7_IdEENS7_IS3_EEb.private_seg_size, 0
	.set _ZN9rocsparseL12csrilu0_hashILj256ELj64ELj16EfEEviPKiS2_PT2_S2_PiS2_S5_S5_d21rocsparse_index_base_imNS_24const_host_device_scalarIfEENS7_IdEENS7_IS3_EEb.uses_vcc, 1
	.set _ZN9rocsparseL12csrilu0_hashILj256ELj64ELj16EfEEviPKiS2_PT2_S2_PiS2_S5_S5_d21rocsparse_index_base_imNS_24const_host_device_scalarIfEENS7_IdEENS7_IS3_EEb.uses_flat_scratch, 0
	.set _ZN9rocsparseL12csrilu0_hashILj256ELj64ELj16EfEEviPKiS2_PT2_S2_PiS2_S5_S5_d21rocsparse_index_base_imNS_24const_host_device_scalarIfEENS7_IdEENS7_IS3_EEb.has_dyn_sized_stack, 0
	.set _ZN9rocsparseL12csrilu0_hashILj256ELj64ELj16EfEEviPKiS2_PT2_S2_PiS2_S5_S5_d21rocsparse_index_base_imNS_24const_host_device_scalarIfEENS7_IdEENS7_IS3_EEb.has_recursion, 0
	.set _ZN9rocsparseL12csrilu0_hashILj256ELj64ELj16EfEEviPKiS2_PT2_S2_PiS2_S5_S5_d21rocsparse_index_base_imNS_24const_host_device_scalarIfEENS7_IdEENS7_IS3_EEb.has_indirect_call, 0
	.section	.AMDGPU.csdata,"",@progbits
; Kernel info:
; codeLenInByte = 2684
; TotalNumSgprs: 42
; NumVgprs: 24
; ScratchSize: 0
; MemoryBound: 0
; FloatMode: 240
; IeeeMode: 1
; LDSByteSize: 32768 bytes/workgroup (compile time only)
; SGPRBlocks: 0
; VGPRBlocks: 14
; NumSGPRsForWavesPerEU: 42
; NumVGPRsForWavesPerEU: 113
; Occupancy: 8
; WaveLimiterHint : 1
; COMPUTE_PGM_RSRC2:SCRATCH_EN: 0
; COMPUTE_PGM_RSRC2:USER_SGPR: 6
; COMPUTE_PGM_RSRC2:TRAP_HANDLER: 0
; COMPUTE_PGM_RSRC2:TGID_X_EN: 1
; COMPUTE_PGM_RSRC2:TGID_Y_EN: 0
; COMPUTE_PGM_RSRC2:TGID_Z_EN: 0
; COMPUTE_PGM_RSRC2:TIDIG_COMP_CNT: 0
	.section	.text._ZN9rocsparseL17csrilu0_binsearchILj256ELj64ELb0EfEEviPKiS2_PT2_S2_PiS2_S5_S5_d21rocsparse_index_base_imNS_24const_host_device_scalarIfEENS7_IdEENS7_IS3_EEb,"axG",@progbits,_ZN9rocsparseL17csrilu0_binsearchILj256ELj64ELb0EfEEviPKiS2_PT2_S2_PiS2_S5_S5_d21rocsparse_index_base_imNS_24const_host_device_scalarIfEENS7_IdEENS7_IS3_EEb,comdat
	.globl	_ZN9rocsparseL17csrilu0_binsearchILj256ELj64ELb0EfEEviPKiS2_PT2_S2_PiS2_S5_S5_d21rocsparse_index_base_imNS_24const_host_device_scalarIfEENS7_IdEENS7_IS3_EEb ; -- Begin function _ZN9rocsparseL17csrilu0_binsearchILj256ELj64ELb0EfEEviPKiS2_PT2_S2_PiS2_S5_S5_d21rocsparse_index_base_imNS_24const_host_device_scalarIfEENS7_IdEENS7_IS3_EEb
	.p2align	8
	.type	_ZN9rocsparseL17csrilu0_binsearchILj256ELj64ELb0EfEEviPKiS2_PT2_S2_PiS2_S5_S5_d21rocsparse_index_base_imNS_24const_host_device_scalarIfEENS7_IdEENS7_IS3_EEb,@function
_ZN9rocsparseL17csrilu0_binsearchILj256ELj64ELb0EfEEviPKiS2_PT2_S2_PiS2_S5_S5_d21rocsparse_index_base_imNS_24const_host_device_scalarIfEENS7_IdEENS7_IS3_EEb: ; @_ZN9rocsparseL17csrilu0_binsearchILj256ELj64ELb0EfEEviPKiS2_PT2_S2_PiS2_S5_S5_d21rocsparse_index_base_imNS_24const_host_device_scalarIfEENS7_IdEENS7_IS3_EEb
; %bb.0:
	s_clause 0x2
	s_load_dword s0, s[4:5], 0x78
	s_load_dwordx2 s[2:3], s[4:5], 0x50
	s_load_dwordx8 s[24:31], s[4:5], 0x58
	s_waitcnt lgkmcnt(0)
	s_bitcmp1_b32 s0, 0
	s_cselect_b32 s0, -1, 0
	s_cmp_eq_u32 s3, 0
	s_cselect_b32 s7, -1, 0
	s_cmp_lg_u32 s3, 0
	s_cselect_b32 s3, -1, 0
	s_or_b32 s9, s7, s0
	s_xor_b32 s8, s9, -1
	s_and_b32 s0, s7, exec_lo
	s_cselect_b32 s1, 0, s29
	s_cselect_b32 s0, 0, s28
	s_and_b32 vcc_lo, exec_lo, s9
	s_cbranch_vccnz .LBB12_2
; %bb.1:
	s_load_dword s0, s[26:27], 0x0
	s_waitcnt lgkmcnt(0)
	v_mov_b32_e32 v16, s0
	s_mov_b64 s[0:1], s[28:29]
	s_branch .LBB12_3
.LBB12_2:
	v_cndmask_b32_e64 v16, s26, 0, s7
.LBB12_3:
	v_mov_b32_e32 v4, s1
	v_cndmask_b32_e64 v1, 0, 1, s8
	v_mov_b32_e32 v3, s0
	s_andn2_b32 vcc_lo, exec_lo, s8
	s_cbranch_vccnz .LBB12_5
; %bb.4:
	v_mov_b32_e32 v2, s28
	v_mov_b32_e32 v3, s29
	flat_load_dwordx2 v[3:4], v[2:3]
.LBB12_5:
	v_cmp_ne_u32_e32 vcc_lo, 1, v1
	s_cbranch_vccnz .LBB12_7
; %bb.6:
	s_load_dword s0, s[30:31], 0x0
	s_waitcnt lgkmcnt(0)
	v_mov_b32_e32 v17, s0
	s_branch .LBB12_8
.LBB12_7:
	v_cndmask_b32_e64 v17, s30, 0, s7
.LBB12_8:
	s_load_dword s0, s[4:5], 0x0
	v_lshrrev_b32_e32 v1, 6, v0
	s_lshl_b32 s1, s6, 2
	v_and_or_b32 v1, 0x3fffffc, s1, v1
	s_waitcnt lgkmcnt(0)
	v_cmp_gt_i32_e32 vcc_lo, s0, v1
	s_and_saveexec_b32 s0, vcc_lo
	s_cbranch_execz .LBB12_44
; %bb.9:
	s_load_dwordx16 s[8:23], s[4:5], 0x8
	v_lshlrev_b32_e32 v1, 2, v1
	v_and_b32_e32 v0, 63, v0
	s_mov_b32 s0, exec_lo
	s_waitcnt lgkmcnt(0)
	global_load_dword v5, v1, s[18:19]
	s_waitcnt vmcnt(0)
	v_ashrrev_i32_e32 v6, 31, v5
	v_lshlrev_b64 v[1:2], 2, v[5:6]
	v_add_co_u32 v8, vcc_lo, s8, v1
	v_add_co_ci_u32_e64 v9, null, s9, v2, vcc_lo
	v_add_co_u32 v6, vcc_lo, s14, v1
	v_add_co_ci_u32_e64 v7, null, s15, v2, vcc_lo
	global_load_dword v10, v[8:9], off
	global_load_dword v6, v[6:7], off
	s_waitcnt vmcnt(1)
	v_subrev_nc_u32_e32 v7, s2, v10
	s_waitcnt vmcnt(0)
	v_cmpx_lt_i32_e64 v7, v6
	s_cbranch_execz .LBB12_26
; %bb.10:
	global_load_dword v8, v[8:9], off offset:4
	v_add_nc_u32_e32 v18, 1, v0
	s_mov_b32 s1, 0
	s_waitcnt vmcnt(0)
	v_xad_u32 v19, s2, -1, v8
	s_branch .LBB12_13
.LBB12_11:                              ;   in Loop: Header=BB12_13 Depth=1
	s_or_b32 exec_lo, exec_lo, s7
	v_cmp_ge_i32_e32 vcc_lo, v7, v6
	s_orn2_b32 s7, vcc_lo, exec_lo
.LBB12_12:                              ;   in Loop: Header=BB12_13 Depth=1
	s_or_b32 exec_lo, exec_lo, s6
	s_and_b32 s6, exec_lo, s7
	s_or_b32 s1, s6, s1
	s_andn2_b32 exec_lo, exec_lo, s1
	s_cbranch_execz .LBB12_26
.LBB12_13:                              ; =>This Loop Header: Depth=1
                                        ;     Child Loop BB12_15 Depth 2
                                        ;     Child Loop BB12_20 Depth 2
                                        ;       Child Loop BB12_22 Depth 3
	v_ashrrev_i32_e32 v8, 31, v7
	s_mov_b32 s6, exec_lo
	v_lshlrev_b64 v[9:10], 2, v[7:8]
	v_add_co_u32 v11, vcc_lo, s10, v9
	v_add_co_ci_u32_e64 v12, null, s11, v10, vcc_lo
	v_add_co_u32 v9, vcc_lo, s12, v9
	v_add_co_ci_u32_e64 v10, null, s13, v10, vcc_lo
	global_load_dword v8, v[11:12], off
	s_waitcnt vmcnt(0)
	v_subrev_nc_u32_e32 v11, s2, v8
	v_ashrrev_i32_e32 v12, 31, v11
	v_lshlrev_b64 v[11:12], 2, v[11:12]
	v_add_co_u32 v14, vcc_lo, s8, v11
	v_add_co_ci_u32_e64 v15, null, s9, v12, vcc_lo
	v_add_co_u32 v20, vcc_lo, s14, v11
	v_add_co_ci_u32_e64 v21, null, s15, v12, vcc_lo
	;; [unrolled: 2-line block ×3, first 2 shown]
	global_load_dword v13, v[9:10], off
	global_load_dword v14, v[14:15], off offset:4
	global_load_dword v8, v[20:21], off
	global_load_dword v15, v[11:12], off glc dlc
	s_waitcnt vmcnt(0)
	v_cmpx_eq_u32_e32 0, v15
	s_cbranch_execz .LBB12_16
; %bb.14:                               ;   in Loop: Header=BB12_13 Depth=1
	s_mov_b32 s7, 0
.LBB12_15:                              ;   Parent Loop BB12_13 Depth=1
                                        ; =>  This Inner Loop Header: Depth=2
	global_load_dword v15, v[11:12], off glc dlc
	s_waitcnt vmcnt(0)
	v_cmp_ne_u32_e32 vcc_lo, 0, v15
	s_or_b32 s7, vcc_lo, s7
	s_andn2_b32 exec_lo, exec_lo, s7
	s_cbranch_execnz .LBB12_15
.LBB12_16:                              ;   in Loop: Header=BB12_13 Depth=1
	s_or_b32 exec_lo, exec_lo, s6
	v_subrev_nc_u32_e32 v20, s2, v14
	v_cmp_eq_u32_e32 vcc_lo, -1, v8
	buffer_gl1_inv
	buffer_gl0_inv
	s_mov_b32 s7, -1
	s_mov_b32 s6, exec_lo
	v_add_nc_u32_e32 v11, -1, v20
	v_cndmask_b32_e32 v11, v8, v11, vcc_lo
	v_ashrrev_i32_e32 v12, 31, v11
	v_lshlrev_b64 v[14:15], 2, v[11:12]
	v_add_co_u32 v14, vcc_lo, s12, v14
	v_add_co_ci_u32_e64 v15, null, s13, v15, vcc_lo
	global_load_dword v12, v[14:15], off
	s_waitcnt vmcnt(0)
	v_cmpx_neq_f32_e32 0, v12
	s_xor_b32 s6, exec_lo, s6
	s_cbranch_execz .LBB12_12
; %bb.17:                               ;   in Loop: Header=BB12_13 Depth=1
	v_div_scale_f32 v8, null, v12, v12, v13
	v_div_scale_f32 v21, vcc_lo, v13, v12, v13
	v_add_nc_u32_e32 v7, 1, v7
	v_rcp_f32_e32 v14, v8
	s_mov_b32 s7, exec_lo
	v_fma_f32 v15, -v8, v14, 1.0
	v_fmac_f32_e32 v14, v15, v14
	v_mul_f32_e32 v15, v21, v14
	v_fma_f32 v22, -v8, v15, v21
	v_fmac_f32_e32 v15, v22, v14
	v_fma_f32 v8, -v8, v15, v21
	v_div_fmas_f32 v14, v8, v14, v15
	v_add_nc_u32_e32 v8, v18, v11
	v_div_fixup_f32 v21, v14, v12, v13
	global_store_dword v[9:10], v21, off
	v_cmpx_lt_i32_e64 v8, v20
	s_cbranch_execz .LBB12_11
; %bb.18:                               ;   in Loop: Header=BB12_13 Depth=1
	v_mov_b32_e32 v10, v7
	s_mov_b32 s18, 0
	s_branch .LBB12_20
.LBB12_19:                              ;   in Loop: Header=BB12_20 Depth=2
	s_or_b32 exec_lo, exec_lo, s19
	v_add_nc_u32_e32 v8, 64, v8
	v_cmp_ge_i32_e32 vcc_lo, v8, v20
	s_or_b32 s18, vcc_lo, s18
	s_andn2_b32 exec_lo, exec_lo, s18
	s_cbranch_execz .LBB12_11
.LBB12_20:                              ;   Parent Loop BB12_13 Depth=1
                                        ; =>  This Loop Header: Depth=2
                                        ;       Child Loop BB12_22 Depth 3
	v_add_nc_u32_e32 v9, v10, v19
	s_mov_b32 s19, exec_lo
	v_ashrrev_i32_e32 v14, 1, v9
	v_ashrrev_i32_e32 v9, 31, v8
	;; [unrolled: 1-line block ×3, first 2 shown]
	v_lshlrev_b64 v[12:13], 2, v[8:9]
	v_lshlrev_b64 v[22:23], 2, v[14:15]
	v_add_co_u32 v24, vcc_lo, s10, v12
	v_add_co_ci_u32_e64 v25, null, s11, v13, vcc_lo
	v_add_co_u32 v22, vcc_lo, s10, v22
	v_add_co_ci_u32_e64 v23, null, s11, v23, vcc_lo
	s_clause 0x1
	global_load_dword v9, v[24:25], off
	global_load_dword v11, v[22:23], off
	v_cmpx_lt_i32_e64 v10, v19
	s_cbranch_execz .LBB12_24
; %bb.21:                               ;   in Loop: Header=BB12_20 Depth=2
	v_mov_b32_e32 v22, v19
	s_mov_b32 s26, 0
	.p2align	6
.LBB12_22:                              ;   Parent Loop BB12_13 Depth=1
                                        ;     Parent Loop BB12_20 Depth=2
                                        ; =>    This Inner Loop Header: Depth=3
	v_add_nc_u32_e32 v15, 1, v14
	s_waitcnt vmcnt(0)
	v_cmp_lt_i32_e32 vcc_lo, v11, v9
	v_cndmask_b32_e32 v22, v14, v22, vcc_lo
	v_cndmask_b32_e32 v10, v10, v15, vcc_lo
	v_add_nc_u32_e32 v11, v22, v10
	v_ashrrev_i32_e32 v14, 1, v11
	v_ashrrev_i32_e32 v15, 31, v14
	v_lshlrev_b64 v[23:24], 2, v[14:15]
	v_add_co_u32 v23, vcc_lo, s10, v23
	v_add_co_ci_u32_e64 v24, null, s11, v24, vcc_lo
	v_cmp_ge_i32_e32 vcc_lo, v10, v22
	global_load_dword v11, v[23:24], off
	s_or_b32 s26, vcc_lo, s26
	s_andn2_b32 exec_lo, exec_lo, s26
	s_cbranch_execnz .LBB12_22
; %bb.23:                               ;   in Loop: Header=BB12_20 Depth=2
	s_or_b32 exec_lo, exec_lo, s26
.LBB12_24:                              ;   in Loop: Header=BB12_20 Depth=2
	s_or_b32 exec_lo, exec_lo, s19
	s_mov_b32 s19, exec_lo
	s_waitcnt vmcnt(0)
	v_cmpx_eq_u32_e64 v11, v9
	s_cbranch_execz .LBB12_19
; %bb.25:                               ;   in Loop: Header=BB12_20 Depth=2
	v_ashrrev_i32_e32 v11, 31, v10
	v_lshlrev_b64 v[14:15], 2, v[10:11]
	v_add_co_u32 v11, vcc_lo, s12, v12
	v_add_co_ci_u32_e64 v12, null, s13, v13, vcc_lo
	v_add_co_u32 v13, vcc_lo, s12, v14
	v_add_co_ci_u32_e64 v14, null, s13, v15, vcc_lo
	s_clause 0x1
	global_load_dword v9, v[11:12], off
	global_load_dword v11, v[13:14], off
	s_waitcnt vmcnt(0)
	v_fma_f32 v9, -v21, v9, v11
	global_store_dword v[13:14], v9, off
	s_branch .LBB12_19
.LBB12_26:
	s_or_b32 exec_lo, exec_lo, s0
	s_mov_b32 s6, -1
	s_mov_b32 s1, exec_lo
	s_waitcnt_vscnt null, 0x0
	buffer_gl0_inv
	v_cmpx_lt_i32_e32 -1, v6
	s_cbranch_execz .LBB12_42
; %bb.27:
	v_mov_b32_e32 v7, 0
	v_cmp_eq_u32_e64 s0, 0, v0
	v_lshlrev_b64 v[6:7], 2, v[6:7]
	v_add_co_u32 v8, vcc_lo, s12, v6
	v_add_co_ci_u32_e64 v9, null, s13, v7, vcc_lo
	global_load_dword v10, v[8:9], off
	s_waitcnt vmcnt(0)
	v_cmp_gt_f32_e32 vcc_lo, 0, v10
	v_cndmask_b32_e64 v6, v10, -v10, vcc_lo
	s_andn2_b32 vcc_lo, exec_lo, s3
	v_cvt_f64_f32_e32 v[6:7], v6
	s_cbranch_vccnz .LBB12_31
; %bb.28:
	v_cvt_f64_f32_e32 v[11:12], v16
	s_cmp_eq_u64 s[24:25], 8
	s_cselect_b32 vcc_lo, -1, 0
	v_cndmask_b32_e32 v4, v12, v4, vcc_lo
	v_cndmask_b32_e32 v3, v11, v3, vcc_lo
	v_cmp_ge_f64_e32 vcc_lo, v[3:4], v[6:7]
	s_and_b32 s6, s0, vcc_lo
	s_and_saveexec_b32 s3, s6
	s_cbranch_execz .LBB12_30
; %bb.29:
	global_store_dword v[8:9], v17, off
.LBB12_30:
	s_or_b32 exec_lo, exec_lo, s3
	s_mov_b32 s6, 0
.LBB12_31:
	s_andn2_b32 vcc_lo, exec_lo, s6
	s_cbranch_vccnz .LBB12_42
; %bb.32:
	s_load_dwordx2 s[4:5], s[4:5], 0x48
	v_add_nc_u32_e32 v3, s2, v5
	s_waitcnt lgkmcnt(0)
	v_cmp_ge_f64_e32 vcc_lo, s[4:5], v[6:7]
	s_and_b32 s3, s0, vcc_lo
	s_and_saveexec_b32 s2, s3
	s_cbranch_execz .LBB12_37
; %bb.33:
	s_mov_b32 s4, exec_lo
	s_brev_b32 s3, -2
.LBB12_34:                              ; =>This Inner Loop Header: Depth=1
	s_ff1_i32_b32 s5, s4
	v_readlane_b32 s6, v3, s5
	s_lshl_b32 s5, 1, s5
	s_andn2_b32 s4, s4, s5
	s_min_i32 s3, s3, s6
	s_cmp_lg_u32 s4, 0
	s_cbranch_scc1 .LBB12_34
; %bb.35:
	v_mbcnt_lo_u32_b32 v4, exec_lo, 0
	s_mov_b32 s4, exec_lo
	v_cmpx_eq_u32_e32 0, v4
	s_xor_b32 s4, exec_lo, s4
	s_cbranch_execz .LBB12_37
; %bb.36:
	v_mov_b32_e32 v4, 0
	v_mov_b32_e32 v5, s3
	global_atomic_smin v4, v5, s[22:23]
.LBB12_37:
	s_or_b32 exec_lo, exec_lo, s2
	v_cmp_eq_f32_e32 vcc_lo, 0, v10
	s_and_b32 s0, s0, vcc_lo
	s_and_b32 exec_lo, exec_lo, s0
	s_cbranch_execz .LBB12_42
; %bb.38:
	s_mov_b32 s2, exec_lo
	s_brev_b32 s0, -2
.LBB12_39:                              ; =>This Inner Loop Header: Depth=1
	s_ff1_i32_b32 s3, s2
	v_readlane_b32 s4, v3, s3
	s_lshl_b32 s3, 1, s3
	s_andn2_b32 s2, s2, s3
	s_min_i32 s0, s0, s4
	s_cmp_lg_u32 s2, 0
	s_cbranch_scc1 .LBB12_39
; %bb.40:
	v_mbcnt_lo_u32_b32 v3, exec_lo, 0
	s_mov_b32 s2, exec_lo
	v_cmpx_eq_u32_e32 0, v3
	s_xor_b32 s2, exec_lo, s2
	s_cbranch_execz .LBB12_42
; %bb.41:
	v_mov_b32_e32 v3, 0
	v_mov_b32_e32 v4, s0
	global_atomic_smin v3, v4, s[20:21]
.LBB12_42:
	s_or_b32 exec_lo, exec_lo, s1
	v_cmp_eq_u32_e32 vcc_lo, 0, v0
	s_waitcnt_vscnt null, 0x0
	buffer_gl1_inv
	buffer_gl0_inv
	s_and_b32 exec_lo, exec_lo, vcc_lo
	s_cbranch_execz .LBB12_44
; %bb.43:
	v_add_co_u32 v0, vcc_lo, s16, v1
	v_add_co_ci_u32_e64 v1, null, s17, v2, vcc_lo
	v_mov_b32_e32 v2, 1
	global_store_dword v[0:1], v2, off
.LBB12_44:
	s_endpgm
	.section	.rodata,"a",@progbits
	.p2align	6, 0x0
	.amdhsa_kernel _ZN9rocsparseL17csrilu0_binsearchILj256ELj64ELb0EfEEviPKiS2_PT2_S2_PiS2_S5_S5_d21rocsparse_index_base_imNS_24const_host_device_scalarIfEENS7_IdEENS7_IS3_EEb
		.amdhsa_group_segment_fixed_size 0
		.amdhsa_private_segment_fixed_size 0
		.amdhsa_kernarg_size 124
		.amdhsa_user_sgpr_count 6
		.amdhsa_user_sgpr_private_segment_buffer 1
		.amdhsa_user_sgpr_dispatch_ptr 0
		.amdhsa_user_sgpr_queue_ptr 0
		.amdhsa_user_sgpr_kernarg_segment_ptr 1
		.amdhsa_user_sgpr_dispatch_id 0
		.amdhsa_user_sgpr_flat_scratch_init 0
		.amdhsa_user_sgpr_private_segment_size 0
		.amdhsa_wavefront_size32 1
		.amdhsa_uses_dynamic_stack 0
		.amdhsa_system_sgpr_private_segment_wavefront_offset 0
		.amdhsa_system_sgpr_workgroup_id_x 1
		.amdhsa_system_sgpr_workgroup_id_y 0
		.amdhsa_system_sgpr_workgroup_id_z 0
		.amdhsa_system_sgpr_workgroup_info 0
		.amdhsa_system_vgpr_workitem_id 0
		.amdhsa_next_free_vgpr 26
		.amdhsa_next_free_sgpr 32
		.amdhsa_reserve_vcc 1
		.amdhsa_reserve_flat_scratch 0
		.amdhsa_float_round_mode_32 0
		.amdhsa_float_round_mode_16_64 0
		.amdhsa_float_denorm_mode_32 3
		.amdhsa_float_denorm_mode_16_64 3
		.amdhsa_dx10_clamp 1
		.amdhsa_ieee_mode 1
		.amdhsa_fp16_overflow 0
		.amdhsa_workgroup_processor_mode 1
		.amdhsa_memory_ordered 1
		.amdhsa_forward_progress 1
		.amdhsa_shared_vgpr_count 0
		.amdhsa_exception_fp_ieee_invalid_op 0
		.amdhsa_exception_fp_denorm_src 0
		.amdhsa_exception_fp_ieee_div_zero 0
		.amdhsa_exception_fp_ieee_overflow 0
		.amdhsa_exception_fp_ieee_underflow 0
		.amdhsa_exception_fp_ieee_inexact 0
		.amdhsa_exception_int_div_zero 0
	.end_amdhsa_kernel
	.section	.text._ZN9rocsparseL17csrilu0_binsearchILj256ELj64ELb0EfEEviPKiS2_PT2_S2_PiS2_S5_S5_d21rocsparse_index_base_imNS_24const_host_device_scalarIfEENS7_IdEENS7_IS3_EEb,"axG",@progbits,_ZN9rocsparseL17csrilu0_binsearchILj256ELj64ELb0EfEEviPKiS2_PT2_S2_PiS2_S5_S5_d21rocsparse_index_base_imNS_24const_host_device_scalarIfEENS7_IdEENS7_IS3_EEb,comdat
.Lfunc_end12:
	.size	_ZN9rocsparseL17csrilu0_binsearchILj256ELj64ELb0EfEEviPKiS2_PT2_S2_PiS2_S5_S5_d21rocsparse_index_base_imNS_24const_host_device_scalarIfEENS7_IdEENS7_IS3_EEb, .Lfunc_end12-_ZN9rocsparseL17csrilu0_binsearchILj256ELj64ELb0EfEEviPKiS2_PT2_S2_PiS2_S5_S5_d21rocsparse_index_base_imNS_24const_host_device_scalarIfEENS7_IdEENS7_IS3_EEb
                                        ; -- End function
	.set _ZN9rocsparseL17csrilu0_binsearchILj256ELj64ELb0EfEEviPKiS2_PT2_S2_PiS2_S5_S5_d21rocsparse_index_base_imNS_24const_host_device_scalarIfEENS7_IdEENS7_IS3_EEb.num_vgpr, 26
	.set _ZN9rocsparseL17csrilu0_binsearchILj256ELj64ELb0EfEEviPKiS2_PT2_S2_PiS2_S5_S5_d21rocsparse_index_base_imNS_24const_host_device_scalarIfEENS7_IdEENS7_IS3_EEb.num_agpr, 0
	.set _ZN9rocsparseL17csrilu0_binsearchILj256ELj64ELb0EfEEviPKiS2_PT2_S2_PiS2_S5_S5_d21rocsparse_index_base_imNS_24const_host_device_scalarIfEENS7_IdEENS7_IS3_EEb.numbered_sgpr, 32
	.set _ZN9rocsparseL17csrilu0_binsearchILj256ELj64ELb0EfEEviPKiS2_PT2_S2_PiS2_S5_S5_d21rocsparse_index_base_imNS_24const_host_device_scalarIfEENS7_IdEENS7_IS3_EEb.num_named_barrier, 0
	.set _ZN9rocsparseL17csrilu0_binsearchILj256ELj64ELb0EfEEviPKiS2_PT2_S2_PiS2_S5_S5_d21rocsparse_index_base_imNS_24const_host_device_scalarIfEENS7_IdEENS7_IS3_EEb.private_seg_size, 0
	.set _ZN9rocsparseL17csrilu0_binsearchILj256ELj64ELb0EfEEviPKiS2_PT2_S2_PiS2_S5_S5_d21rocsparse_index_base_imNS_24const_host_device_scalarIfEENS7_IdEENS7_IS3_EEb.uses_vcc, 1
	.set _ZN9rocsparseL17csrilu0_binsearchILj256ELj64ELb0EfEEviPKiS2_PT2_S2_PiS2_S5_S5_d21rocsparse_index_base_imNS_24const_host_device_scalarIfEENS7_IdEENS7_IS3_EEb.uses_flat_scratch, 0
	.set _ZN9rocsparseL17csrilu0_binsearchILj256ELj64ELb0EfEEviPKiS2_PT2_S2_PiS2_S5_S5_d21rocsparse_index_base_imNS_24const_host_device_scalarIfEENS7_IdEENS7_IS3_EEb.has_dyn_sized_stack, 0
	.set _ZN9rocsparseL17csrilu0_binsearchILj256ELj64ELb0EfEEviPKiS2_PT2_S2_PiS2_S5_S5_d21rocsparse_index_base_imNS_24const_host_device_scalarIfEENS7_IdEENS7_IS3_EEb.has_recursion, 0
	.set _ZN9rocsparseL17csrilu0_binsearchILj256ELj64ELb0EfEEviPKiS2_PT2_S2_PiS2_S5_S5_d21rocsparse_index_base_imNS_24const_host_device_scalarIfEENS7_IdEENS7_IS3_EEb.has_indirect_call, 0
	.section	.AMDGPU.csdata,"",@progbits
; Kernel info:
; codeLenInByte = 1664
; TotalNumSgprs: 34
; NumVgprs: 26
; ScratchSize: 0
; MemoryBound: 0
; FloatMode: 240
; IeeeMode: 1
; LDSByteSize: 0 bytes/workgroup (compile time only)
; SGPRBlocks: 0
; VGPRBlocks: 3
; NumSGPRsForWavesPerEU: 34
; NumVGPRsForWavesPerEU: 26
; Occupancy: 16
; WaveLimiterHint : 1
; COMPUTE_PGM_RSRC2:SCRATCH_EN: 0
; COMPUTE_PGM_RSRC2:USER_SGPR: 6
; COMPUTE_PGM_RSRC2:TRAP_HANDLER: 0
; COMPUTE_PGM_RSRC2:TGID_X_EN: 1
; COMPUTE_PGM_RSRC2:TGID_Y_EN: 0
; COMPUTE_PGM_RSRC2:TGID_Z_EN: 0
; COMPUTE_PGM_RSRC2:TIDIG_COMP_CNT: 0
	.section	.text._ZN9rocsparseL17csrilu0_binsearchILj256ELj64ELb1EdEEviPKiS2_PT2_S2_PiS2_S5_S5_d21rocsparse_index_base_imNS_24const_host_device_scalarIfEENS7_IdEENS7_IS3_EEb,"axG",@progbits,_ZN9rocsparseL17csrilu0_binsearchILj256ELj64ELb1EdEEviPKiS2_PT2_S2_PiS2_S5_S5_d21rocsparse_index_base_imNS_24const_host_device_scalarIfEENS7_IdEENS7_IS3_EEb,comdat
	.globl	_ZN9rocsparseL17csrilu0_binsearchILj256ELj64ELb1EdEEviPKiS2_PT2_S2_PiS2_S5_S5_d21rocsparse_index_base_imNS_24const_host_device_scalarIfEENS7_IdEENS7_IS3_EEb ; -- Begin function _ZN9rocsparseL17csrilu0_binsearchILj256ELj64ELb1EdEEviPKiS2_PT2_S2_PiS2_S5_S5_d21rocsparse_index_base_imNS_24const_host_device_scalarIfEENS7_IdEENS7_IS3_EEb
	.p2align	8
	.type	_ZN9rocsparseL17csrilu0_binsearchILj256ELj64ELb1EdEEviPKiS2_PT2_S2_PiS2_S5_S5_d21rocsparse_index_base_imNS_24const_host_device_scalarIfEENS7_IdEENS7_IS3_EEb,@function
_ZN9rocsparseL17csrilu0_binsearchILj256ELj64ELb1EdEEviPKiS2_PT2_S2_PiS2_S5_S5_d21rocsparse_index_base_imNS_24const_host_device_scalarIfEENS7_IdEENS7_IS3_EEb: ; @_ZN9rocsparseL17csrilu0_binsearchILj256ELj64ELb1EdEEviPKiS2_PT2_S2_PiS2_S5_S5_d21rocsparse_index_base_imNS_24const_host_device_scalarIfEENS7_IdEENS7_IS3_EEb
; %bb.0:
	s_clause 0x2
	s_load_dword s0, s[4:5], 0x78
	s_load_dwordx2 s[2:3], s[4:5], 0x50
	s_load_dwordx8 s[24:31], s[4:5], 0x58
	s_waitcnt lgkmcnt(0)
	s_bitcmp1_b32 s0, 0
	s_cselect_b32 s0, -1, 0
	s_cmp_eq_u32 s3, 0
	s_cselect_b32 s7, -1, 0
	s_cmp_lg_u32 s3, 0
	s_cselect_b32 s3, -1, 0
	s_or_b32 s9, s7, s0
	s_xor_b32 s8, s9, -1
	s_and_b32 s0, s7, exec_lo
	s_cselect_b32 s1, 0, s29
	s_cselect_b32 s0, 0, s28
	s_and_b32 vcc_lo, exec_lo, s9
	s_cbranch_vccnz .LBB13_2
; %bb.1:
	s_load_dword s0, s[26:27], 0x0
	s_waitcnt lgkmcnt(0)
	v_mov_b32_e32 v18, s0
	s_mov_b64 s[0:1], s[28:29]
	s_branch .LBB13_3
.LBB13_2:
	v_cndmask_b32_e64 v18, s26, 0, s7
.LBB13_3:
	v_mov_b32_e32 v4, s1
	v_cndmask_b32_e64 v1, 0, 1, s8
	v_mov_b32_e32 v3, s0
	s_andn2_b32 vcc_lo, exec_lo, s8
	s_cbranch_vccnz .LBB13_5
; %bb.4:
	v_mov_b32_e32 v2, s28
	v_mov_b32_e32 v3, s29
	flat_load_dwordx2 v[3:4], v[2:3]
.LBB13_5:
	s_and_b32 s0, s7, exec_lo
	s_cselect_b32 s1, 0, s31
	v_cmp_ne_u32_e32 vcc_lo, 1, v1
	s_cselect_b32 s0, 0, s30
	v_mov_b32_e32 v6, s1
	v_mov_b32_e32 v5, s0
	s_cbranch_vccnz .LBB13_7
; %bb.6:
	v_mov_b32_e32 v1, s30
	v_mov_b32_e32 v2, s31
	flat_load_dwordx2 v[5:6], v[1:2]
.LBB13_7:
	s_load_dword s0, s[4:5], 0x0
	v_lshrrev_b32_e32 v1, 6, v0
	s_lshl_b32 s1, s6, 2
	v_and_or_b32 v1, 0x3fffffc, s1, v1
	s_waitcnt lgkmcnt(0)
	v_cmp_gt_i32_e32 vcc_lo, s0, v1
	s_and_saveexec_b32 s0, vcc_lo
	s_cbranch_execz .LBB13_45
; %bb.8:
	s_load_dwordx16 s[8:23], s[4:5], 0x8
	v_lshlrev_b32_e32 v1, 2, v1
	v_and_b32_e32 v0, 63, v0
	s_mov_b32 s0, exec_lo
	s_waitcnt lgkmcnt(0)
	global_load_dword v7, v1, s[18:19]
	s_waitcnt vmcnt(0)
	v_ashrrev_i32_e32 v8, 31, v7
	v_lshlrev_b64 v[1:2], 2, v[7:8]
	v_add_co_u32 v10, vcc_lo, s8, v1
	v_add_co_ci_u32_e64 v11, null, s9, v2, vcc_lo
	v_add_co_u32 v8, vcc_lo, s14, v1
	v_add_co_ci_u32_e64 v9, null, s15, v2, vcc_lo
	global_load_dword v12, v[10:11], off
	global_load_dword v8, v[8:9], off
	s_waitcnt vmcnt(1)
	v_subrev_nc_u32_e32 v9, s2, v12
	s_waitcnt vmcnt(0)
	v_cmpx_lt_i32_e64 v9, v8
	s_cbranch_execz .LBB13_27
; %bb.9:
	global_load_dword v10, v[10:11], off offset:4
	v_add_nc_u32_e32 v19, 1, v0
	s_mov_b32 s1, 0
	s_waitcnt vmcnt(0)
	v_xad_u32 v20, s2, -1, v10
	s_branch .LBB13_12
.LBB13_10:                              ;   in Loop: Header=BB13_12 Depth=1
	s_or_b32 exec_lo, exec_lo, s7
	v_cmp_ge_i32_e32 vcc_lo, v9, v8
	s_orn2_b32 s7, vcc_lo, exec_lo
.LBB13_11:                              ;   in Loop: Header=BB13_12 Depth=1
	s_or_b32 exec_lo, exec_lo, s6
	s_and_b32 s6, exec_lo, s7
	s_or_b32 s1, s6, s1
	s_andn2_b32 exec_lo, exec_lo, s1
	s_cbranch_execz .LBB13_27
.LBB13_12:                              ; =>This Loop Header: Depth=1
                                        ;     Child Loop BB13_15 Depth 2
                                        ;       Child Loop BB13_16 Depth 3
                                        ;     Child Loop BB13_21 Depth 2
                                        ;       Child Loop BB13_23 Depth 3
	v_ashrrev_i32_e32 v10, 31, v9
	s_mov_b32 s6, exec_lo
	v_lshlrev_b64 v[11:12], 2, v[9:10]
	v_lshlrev_b64 v[13:14], 3, v[9:10]
	v_add_co_u32 v11, vcc_lo, s10, v11
	v_add_co_ci_u32_e64 v12, null, s11, v12, vcc_lo
	v_add_co_u32 v13, vcc_lo, s12, v13
	v_add_co_ci_u32_e64 v14, null, s13, v14, vcc_lo
	global_load_dword v11, v[11:12], off
	s_waitcnt vmcnt(0)
	v_subrev_nc_u32_e32 v11, s2, v11
	v_ashrrev_i32_e32 v12, 31, v11
	v_lshlrev_b64 v[10:11], 2, v[11:12]
	v_add_co_u32 v21, vcc_lo, s8, v10
	v_add_co_ci_u32_e64 v22, null, s9, v11, vcc_lo
	v_add_co_u32 v23, vcc_lo, s14, v10
	v_add_co_ci_u32_e64 v24, null, s15, v11, vcc_lo
	;; [unrolled: 2-line block ×3, first 2 shown]
	global_load_dwordx2 v[10:11], v[13:14], off
	global_load_dword v17, v[21:22], off offset:4
	global_load_dword v12, v[23:24], off
	global_load_dword v21, v[15:16], off glc dlc
	s_waitcnt vmcnt(0)
	v_cmpx_eq_u32_e32 0, v21
	s_cbranch_execz .LBB13_17
; %bb.13:                               ;   in Loop: Header=BB13_12 Depth=1
	s_mov_b32 s7, 0
	s_mov_b32 s18, 0
	s_branch .LBB13_15
	.p2align	6
.LBB13_14:                              ;   in Loop: Header=BB13_15 Depth=2
	global_load_dword v21, v[15:16], off glc dlc
	s_cmpk_lt_u32 s18, 0xf43
	s_cselect_b32 s19, -1, 0
	s_cmp_lg_u32 s19, 0
	s_addc_u32 s18, s18, 0
	s_waitcnt vmcnt(0)
	v_cmp_ne_u32_e32 vcc_lo, 0, v21
	s_or_b32 s7, vcc_lo, s7
	s_andn2_b32 exec_lo, exec_lo, s7
	s_cbranch_execz .LBB13_17
.LBB13_15:                              ;   Parent Loop BB13_12 Depth=1
                                        ; =>  This Loop Header: Depth=2
                                        ;       Child Loop BB13_16 Depth 3
	s_cmp_eq_u32 s18, 0
	s_mov_b32 s19, s18
	s_cbranch_scc1 .LBB13_14
.LBB13_16:                              ;   Parent Loop BB13_12 Depth=1
                                        ;     Parent Loop BB13_15 Depth=2
                                        ; =>    This Inner Loop Header: Depth=3
	s_add_i32 s19, s19, -1
	s_sleep 1
	s_cmp_eq_u32 s19, 0
	s_cbranch_scc0 .LBB13_16
	s_branch .LBB13_14
.LBB13_17:                              ;   in Loop: Header=BB13_12 Depth=1
	s_or_b32 exec_lo, exec_lo, s6
	v_subrev_nc_u32_e32 v21, s2, v17
	v_cmp_eq_u32_e32 vcc_lo, -1, v12
	buffer_gl1_inv
	buffer_gl0_inv
	s_mov_b32 s7, -1
	s_mov_b32 s6, exec_lo
	v_add_nc_u32_e32 v15, -1, v21
	v_cndmask_b32_e32 v15, v12, v15, vcc_lo
	v_ashrrev_i32_e32 v16, 31, v15
	v_lshlrev_b64 v[16:17], 3, v[15:16]
	v_add_co_u32 v16, vcc_lo, s12, v16
	v_add_co_ci_u32_e64 v17, null, s13, v17, vcc_lo
	global_load_dwordx2 v[16:17], v[16:17], off
	s_waitcnt vmcnt(0)
	v_cmpx_neq_f64_e32 0, v[16:17]
	s_xor_b32 s6, exec_lo, s6
	s_cbranch_execz .LBB13_11
; %bb.18:                               ;   in Loop: Header=BB13_12 Depth=1
	v_div_scale_f64 v[22:23], null, v[16:17], v[16:17], v[10:11]
	v_add_nc_u32_e32 v12, v19, v15
	v_add_nc_u32_e32 v9, 1, v9
	s_mov_b32 s7, exec_lo
	v_rcp_f64_e32 v[24:25], v[22:23]
	v_fma_f64 v[26:27], -v[22:23], v[24:25], 1.0
	v_fma_f64 v[24:25], v[24:25], v[26:27], v[24:25]
	v_fma_f64 v[26:27], -v[22:23], v[24:25], 1.0
	v_fma_f64 v[24:25], v[24:25], v[26:27], v[24:25]
	v_div_scale_f64 v[26:27], vcc_lo, v[10:11], v[16:17], v[10:11]
	v_mul_f64 v[28:29], v[26:27], v[24:25]
	v_fma_f64 v[22:23], -v[22:23], v[28:29], v[26:27]
	v_div_fmas_f64 v[22:23], v[22:23], v[24:25], v[28:29]
	v_div_fixup_f64 v[10:11], v[22:23], v[16:17], v[10:11]
	global_store_dwordx2 v[13:14], v[10:11], off
	v_cmpx_lt_i32_e64 v12, v21
	s_cbranch_execz .LBB13_10
; %bb.19:                               ;   in Loop: Header=BB13_12 Depth=1
	v_mov_b32_e32 v14, v9
	s_mov_b32 s18, 0
	s_branch .LBB13_21
.LBB13_20:                              ;   in Loop: Header=BB13_21 Depth=2
	s_or_b32 exec_lo, exec_lo, s19
	v_add_nc_u32_e32 v12, 64, v12
	v_cmp_ge_i32_e32 vcc_lo, v12, v21
	s_or_b32 s18, vcc_lo, s18
	s_andn2_b32 exec_lo, exec_lo, s18
	s_cbranch_execz .LBB13_10
.LBB13_21:                              ;   Parent Loop BB13_12 Depth=1
                                        ; =>  This Loop Header: Depth=2
                                        ;       Child Loop BB13_23 Depth 3
	v_add_nc_u32_e32 v13, v14, v20
	s_mov_b32 s19, exec_lo
	v_ashrrev_i32_e32 v15, 1, v13
	v_ashrrev_i32_e32 v13, 31, v12
	;; [unrolled: 1-line block ×3, first 2 shown]
	v_lshlrev_b64 v[22:23], 2, v[12:13]
	v_lshlrev_b64 v[16:17], 2, v[15:16]
	v_add_co_u32 v22, vcc_lo, s10, v22
	v_add_co_ci_u32_e64 v23, null, s11, v23, vcc_lo
	v_add_co_u32 v24, vcc_lo, s10, v16
	v_add_co_ci_u32_e64 v25, null, s11, v17, vcc_lo
	s_clause 0x1
	global_load_dword v17, v[22:23], off
	global_load_dword v16, v[24:25], off
	v_cmpx_lt_i32_e64 v14, v20
	s_cbranch_execz .LBB13_25
; %bb.22:                               ;   in Loop: Header=BB13_21 Depth=2
	v_mov_b32_e32 v22, v20
	s_mov_b32 s26, 0
	.p2align	6
.LBB13_23:                              ;   Parent Loop BB13_12 Depth=1
                                        ;     Parent Loop BB13_21 Depth=2
                                        ; =>    This Inner Loop Header: Depth=3
	v_add_nc_u32_e32 v23, 1, v15
	s_waitcnt vmcnt(0)
	v_cmp_lt_i32_e32 vcc_lo, v16, v17
	v_cndmask_b32_e32 v22, v15, v22, vcc_lo
	v_cndmask_b32_e32 v14, v14, v23, vcc_lo
	v_add_nc_u32_e32 v15, v22, v14
	v_ashrrev_i32_e32 v15, 1, v15
	v_ashrrev_i32_e32 v16, 31, v15
	v_lshlrev_b64 v[23:24], 2, v[15:16]
	v_add_co_u32 v23, vcc_lo, s10, v23
	v_add_co_ci_u32_e64 v24, null, s11, v24, vcc_lo
	v_cmp_ge_i32_e32 vcc_lo, v14, v22
	global_load_dword v16, v[23:24], off
	s_or_b32 s26, vcc_lo, s26
	s_andn2_b32 exec_lo, exec_lo, s26
	s_cbranch_execnz .LBB13_23
; %bb.24:                               ;   in Loop: Header=BB13_21 Depth=2
	s_or_b32 exec_lo, exec_lo, s26
.LBB13_25:                              ;   in Loop: Header=BB13_21 Depth=2
	s_or_b32 exec_lo, exec_lo, s19
	s_mov_b32 s19, exec_lo
	s_waitcnt vmcnt(0)
	v_cmpx_eq_u32_e64 v16, v17
	s_cbranch_execz .LBB13_20
; %bb.26:                               ;   in Loop: Header=BB13_21 Depth=2
	v_ashrrev_i32_e32 v15, 31, v14
	v_lshlrev_b64 v[16:17], 3, v[12:13]
	v_lshlrev_b64 v[22:23], 3, v[14:15]
	v_add_co_u32 v15, vcc_lo, s12, v16
	v_add_co_ci_u32_e64 v16, null, s13, v17, vcc_lo
	v_add_co_u32 v22, vcc_lo, s12, v22
	v_add_co_ci_u32_e64 v23, null, s13, v23, vcc_lo
	s_clause 0x1
	global_load_dwordx2 v[15:16], v[15:16], off
	global_load_dwordx2 v[24:25], v[22:23], off
	s_waitcnt vmcnt(0)
	v_fma_f64 v[15:16], -v[10:11], v[15:16], v[24:25]
	global_store_dwordx2 v[22:23], v[15:16], off
	s_branch .LBB13_20
.LBB13_27:
	s_or_b32 exec_lo, exec_lo, s0
	s_mov_b32 s6, -1
	s_mov_b32 s1, exec_lo
	s_waitcnt_vscnt null, 0x0
	buffer_gl0_inv
	v_cmpx_lt_i32_e32 -1, v8
	s_cbranch_execz .LBB13_43
; %bb.28:
	v_mov_b32_e32 v9, 0
	v_cmp_eq_u32_e64 s0, 0, v0
	v_lshlrev_b64 v[8:9], 3, v[8:9]
	v_add_co_u32 v10, vcc_lo, s12, v8
	v_add_co_ci_u32_e64 v11, null, s13, v9, vcc_lo
	global_load_dwordx2 v[8:9], v[10:11], off
	s_waitcnt vmcnt(0)
	v_cmp_gt_f64_e32 vcc_lo, 0, v[8:9]
	v_xor_b32_e32 v13, 0x80000000, v9
	v_mov_b32_e32 v12, v8
	v_cndmask_b32_e32 v13, v9, v13, vcc_lo
	s_andn2_b32 vcc_lo, exec_lo, s3
	s_cbranch_vccnz .LBB13_32
; %bb.29:
	v_cvt_f64_f32_e32 v[14:15], v18
	s_cmp_eq_u64 s[24:25], 8
	s_cselect_b32 vcc_lo, -1, 0
	v_cndmask_b32_e32 v4, v15, v4, vcc_lo
	v_cndmask_b32_e32 v3, v14, v3, vcc_lo
	v_cmp_le_f64_e32 vcc_lo, v[12:13], v[3:4]
	s_and_b32 s6, s0, vcc_lo
	s_and_saveexec_b32 s3, s6
	s_cbranch_execz .LBB13_31
; %bb.30:
	global_store_dwordx2 v[10:11], v[5:6], off
.LBB13_31:
	s_or_b32 exec_lo, exec_lo, s3
	s_mov_b32 s6, 0
.LBB13_32:
	s_andn2_b32 vcc_lo, exec_lo, s6
	s_cbranch_vccnz .LBB13_43
; %bb.33:
	s_load_dwordx2 s[4:5], s[4:5], 0x48
	v_add_nc_u32_e32 v3, s2, v7
	s_waitcnt lgkmcnt(0)
	v_cmp_ge_f64_e32 vcc_lo, s[4:5], v[12:13]
	s_and_b32 s3, s0, vcc_lo
	s_and_saveexec_b32 s2, s3
	s_cbranch_execz .LBB13_38
; %bb.34:
	s_mov_b32 s4, exec_lo
	s_brev_b32 s3, -2
.LBB13_35:                              ; =>This Inner Loop Header: Depth=1
	s_ff1_i32_b32 s5, s4
	v_readlane_b32 s6, v3, s5
	s_lshl_b32 s5, 1, s5
	s_andn2_b32 s4, s4, s5
	s_min_i32 s3, s3, s6
	s_cmp_lg_u32 s4, 0
	s_cbranch_scc1 .LBB13_35
; %bb.36:
	v_mbcnt_lo_u32_b32 v4, exec_lo, 0
	s_mov_b32 s4, exec_lo
	v_cmpx_eq_u32_e32 0, v4
	s_xor_b32 s4, exec_lo, s4
	s_cbranch_execz .LBB13_38
; %bb.37:
	v_mov_b32_e32 v4, 0
	v_mov_b32_e32 v5, s3
	global_atomic_smin v4, v5, s[22:23]
.LBB13_38:
	s_or_b32 exec_lo, exec_lo, s2
	v_cmp_eq_f64_e32 vcc_lo, 0, v[8:9]
	s_and_b32 s0, s0, vcc_lo
	s_and_b32 exec_lo, exec_lo, s0
	s_cbranch_execz .LBB13_43
; %bb.39:
	s_mov_b32 s2, exec_lo
	s_brev_b32 s0, -2
.LBB13_40:                              ; =>This Inner Loop Header: Depth=1
	s_ff1_i32_b32 s3, s2
	v_readlane_b32 s4, v3, s3
	s_lshl_b32 s3, 1, s3
	s_andn2_b32 s2, s2, s3
	s_min_i32 s0, s0, s4
	s_cmp_lg_u32 s2, 0
	s_cbranch_scc1 .LBB13_40
; %bb.41:
	v_mbcnt_lo_u32_b32 v3, exec_lo, 0
	s_mov_b32 s2, exec_lo
	v_cmpx_eq_u32_e32 0, v3
	s_xor_b32 s2, exec_lo, s2
	s_cbranch_execz .LBB13_43
; %bb.42:
	v_mov_b32_e32 v3, 0
	v_mov_b32_e32 v4, s0
	global_atomic_smin v3, v4, s[20:21]
.LBB13_43:
	s_or_b32 exec_lo, exec_lo, s1
	v_cmp_eq_u32_e32 vcc_lo, 0, v0
	s_waitcnt_vscnt null, 0x0
	buffer_gl1_inv
	buffer_gl0_inv
	s_and_b32 exec_lo, exec_lo, vcc_lo
	s_cbranch_execz .LBB13_45
; %bb.44:
	v_add_co_u32 v0, vcc_lo, s16, v1
	v_add_co_ci_u32_e64 v1, null, s17, v2, vcc_lo
	v_mov_b32_e32 v2, 1
	global_store_dword v[0:1], v2, off
.LBB13_45:
	s_endpgm
	.section	.rodata,"a",@progbits
	.p2align	6, 0x0
	.amdhsa_kernel _ZN9rocsparseL17csrilu0_binsearchILj256ELj64ELb1EdEEviPKiS2_PT2_S2_PiS2_S5_S5_d21rocsparse_index_base_imNS_24const_host_device_scalarIfEENS7_IdEENS7_IS3_EEb
		.amdhsa_group_segment_fixed_size 0
		.amdhsa_private_segment_fixed_size 0
		.amdhsa_kernarg_size 124
		.amdhsa_user_sgpr_count 6
		.amdhsa_user_sgpr_private_segment_buffer 1
		.amdhsa_user_sgpr_dispatch_ptr 0
		.amdhsa_user_sgpr_queue_ptr 0
		.amdhsa_user_sgpr_kernarg_segment_ptr 1
		.amdhsa_user_sgpr_dispatch_id 0
		.amdhsa_user_sgpr_flat_scratch_init 0
		.amdhsa_user_sgpr_private_segment_size 0
		.amdhsa_wavefront_size32 1
		.amdhsa_uses_dynamic_stack 0
		.amdhsa_system_sgpr_private_segment_wavefront_offset 0
		.amdhsa_system_sgpr_workgroup_id_x 1
		.amdhsa_system_sgpr_workgroup_id_y 0
		.amdhsa_system_sgpr_workgroup_id_z 0
		.amdhsa_system_sgpr_workgroup_info 0
		.amdhsa_system_vgpr_workitem_id 0
		.amdhsa_next_free_vgpr 30
		.amdhsa_next_free_sgpr 32
		.amdhsa_reserve_vcc 1
		.amdhsa_reserve_flat_scratch 0
		.amdhsa_float_round_mode_32 0
		.amdhsa_float_round_mode_16_64 0
		.amdhsa_float_denorm_mode_32 3
		.amdhsa_float_denorm_mode_16_64 3
		.amdhsa_dx10_clamp 1
		.amdhsa_ieee_mode 1
		.amdhsa_fp16_overflow 0
		.amdhsa_workgroup_processor_mode 1
		.amdhsa_memory_ordered 1
		.amdhsa_forward_progress 1
		.amdhsa_shared_vgpr_count 0
		.amdhsa_exception_fp_ieee_invalid_op 0
		.amdhsa_exception_fp_denorm_src 0
		.amdhsa_exception_fp_ieee_div_zero 0
		.amdhsa_exception_fp_ieee_overflow 0
		.amdhsa_exception_fp_ieee_underflow 0
		.amdhsa_exception_fp_ieee_inexact 0
		.amdhsa_exception_int_div_zero 0
	.end_amdhsa_kernel
	.section	.text._ZN9rocsparseL17csrilu0_binsearchILj256ELj64ELb1EdEEviPKiS2_PT2_S2_PiS2_S5_S5_d21rocsparse_index_base_imNS_24const_host_device_scalarIfEENS7_IdEENS7_IS3_EEb,"axG",@progbits,_ZN9rocsparseL17csrilu0_binsearchILj256ELj64ELb1EdEEviPKiS2_PT2_S2_PiS2_S5_S5_d21rocsparse_index_base_imNS_24const_host_device_scalarIfEENS7_IdEENS7_IS3_EEb,comdat
.Lfunc_end13:
	.size	_ZN9rocsparseL17csrilu0_binsearchILj256ELj64ELb1EdEEviPKiS2_PT2_S2_PiS2_S5_S5_d21rocsparse_index_base_imNS_24const_host_device_scalarIfEENS7_IdEENS7_IS3_EEb, .Lfunc_end13-_ZN9rocsparseL17csrilu0_binsearchILj256ELj64ELb1EdEEviPKiS2_PT2_S2_PiS2_S5_S5_d21rocsparse_index_base_imNS_24const_host_device_scalarIfEENS7_IdEENS7_IS3_EEb
                                        ; -- End function
	.set _ZN9rocsparseL17csrilu0_binsearchILj256ELj64ELb1EdEEviPKiS2_PT2_S2_PiS2_S5_S5_d21rocsparse_index_base_imNS_24const_host_device_scalarIfEENS7_IdEENS7_IS3_EEb.num_vgpr, 30
	.set _ZN9rocsparseL17csrilu0_binsearchILj256ELj64ELb1EdEEviPKiS2_PT2_S2_PiS2_S5_S5_d21rocsparse_index_base_imNS_24const_host_device_scalarIfEENS7_IdEENS7_IS3_EEb.num_agpr, 0
	.set _ZN9rocsparseL17csrilu0_binsearchILj256ELj64ELb1EdEEviPKiS2_PT2_S2_PiS2_S5_S5_d21rocsparse_index_base_imNS_24const_host_device_scalarIfEENS7_IdEENS7_IS3_EEb.numbered_sgpr, 32
	.set _ZN9rocsparseL17csrilu0_binsearchILj256ELj64ELb1EdEEviPKiS2_PT2_S2_PiS2_S5_S5_d21rocsparse_index_base_imNS_24const_host_device_scalarIfEENS7_IdEENS7_IS3_EEb.num_named_barrier, 0
	.set _ZN9rocsparseL17csrilu0_binsearchILj256ELj64ELb1EdEEviPKiS2_PT2_S2_PiS2_S5_S5_d21rocsparse_index_base_imNS_24const_host_device_scalarIfEENS7_IdEENS7_IS3_EEb.private_seg_size, 0
	.set _ZN9rocsparseL17csrilu0_binsearchILj256ELj64ELb1EdEEviPKiS2_PT2_S2_PiS2_S5_S5_d21rocsparse_index_base_imNS_24const_host_device_scalarIfEENS7_IdEENS7_IS3_EEb.uses_vcc, 1
	.set _ZN9rocsparseL17csrilu0_binsearchILj256ELj64ELb1EdEEviPKiS2_PT2_S2_PiS2_S5_S5_d21rocsparse_index_base_imNS_24const_host_device_scalarIfEENS7_IdEENS7_IS3_EEb.uses_flat_scratch, 0
	.set _ZN9rocsparseL17csrilu0_binsearchILj256ELj64ELb1EdEEviPKiS2_PT2_S2_PiS2_S5_S5_d21rocsparse_index_base_imNS_24const_host_device_scalarIfEENS7_IdEENS7_IS3_EEb.has_dyn_sized_stack, 0
	.set _ZN9rocsparseL17csrilu0_binsearchILj256ELj64ELb1EdEEviPKiS2_PT2_S2_PiS2_S5_S5_d21rocsparse_index_base_imNS_24const_host_device_scalarIfEENS7_IdEENS7_IS3_EEb.has_recursion, 0
	.set _ZN9rocsparseL17csrilu0_binsearchILj256ELj64ELb1EdEEviPKiS2_PT2_S2_PiS2_S5_S5_d21rocsparse_index_base_imNS_24const_host_device_scalarIfEENS7_IdEENS7_IS3_EEb.has_indirect_call, 0
	.section	.AMDGPU.csdata,"",@progbits
; Kernel info:
; codeLenInByte = 1740
; TotalNumSgprs: 34
; NumVgprs: 30
; ScratchSize: 0
; MemoryBound: 0
; FloatMode: 240
; IeeeMode: 1
; LDSByteSize: 0 bytes/workgroup (compile time only)
; SGPRBlocks: 0
; VGPRBlocks: 3
; NumSGPRsForWavesPerEU: 34
; NumVGPRsForWavesPerEU: 30
; Occupancy: 16
; WaveLimiterHint : 1
; COMPUTE_PGM_RSRC2:SCRATCH_EN: 0
; COMPUTE_PGM_RSRC2:USER_SGPR: 6
; COMPUTE_PGM_RSRC2:TRAP_HANDLER: 0
; COMPUTE_PGM_RSRC2:TGID_X_EN: 1
; COMPUTE_PGM_RSRC2:TGID_Y_EN: 0
; COMPUTE_PGM_RSRC2:TGID_Z_EN: 0
; COMPUTE_PGM_RSRC2:TIDIG_COMP_CNT: 0
	.section	.text._ZN9rocsparseL12csrilu0_hashILj256ELj32ELj1EdEEviPKiS2_PT2_S2_PiS2_S5_S5_d21rocsparse_index_base_imNS_24const_host_device_scalarIfEENS7_IdEENS7_IS3_EEb,"axG",@progbits,_ZN9rocsparseL12csrilu0_hashILj256ELj32ELj1EdEEviPKiS2_PT2_S2_PiS2_S5_S5_d21rocsparse_index_base_imNS_24const_host_device_scalarIfEENS7_IdEENS7_IS3_EEb,comdat
	.globl	_ZN9rocsparseL12csrilu0_hashILj256ELj32ELj1EdEEviPKiS2_PT2_S2_PiS2_S5_S5_d21rocsparse_index_base_imNS_24const_host_device_scalarIfEENS7_IdEENS7_IS3_EEb ; -- Begin function _ZN9rocsparseL12csrilu0_hashILj256ELj32ELj1EdEEviPKiS2_PT2_S2_PiS2_S5_S5_d21rocsparse_index_base_imNS_24const_host_device_scalarIfEENS7_IdEENS7_IS3_EEb
	.p2align	8
	.type	_ZN9rocsparseL12csrilu0_hashILj256ELj32ELj1EdEEviPKiS2_PT2_S2_PiS2_S5_S5_d21rocsparse_index_base_imNS_24const_host_device_scalarIfEENS7_IdEENS7_IS3_EEb,@function
_ZN9rocsparseL12csrilu0_hashILj256ELj32ELj1EdEEviPKiS2_PT2_S2_PiS2_S5_S5_d21rocsparse_index_base_imNS_24const_host_device_scalarIfEENS7_IdEENS7_IS3_EEb: ; @_ZN9rocsparseL12csrilu0_hashILj256ELj32ELj1EdEEviPKiS2_PT2_S2_PiS2_S5_S5_d21rocsparse_index_base_imNS_24const_host_device_scalarIfEENS7_IdEENS7_IS3_EEb
; %bb.0:
	s_clause 0x2
	s_load_dword s0, s[4:5], 0x78
	s_load_dwordx2 s[2:3], s[4:5], 0x50
	s_load_dwordx8 s[24:31], s[4:5], 0x58
	s_waitcnt lgkmcnt(0)
	s_bitcmp1_b32 s0, 0
	s_cselect_b32 s0, -1, 0
	s_cmp_eq_u32 s3, 0
	s_cselect_b32 s7, -1, 0
	s_cmp_lg_u32 s3, 0
	s_cselect_b32 s3, -1, 0
	s_or_b32 s9, s7, s0
	s_xor_b32 s8, s9, -1
	s_and_b32 s0, s7, exec_lo
	s_cselect_b32 s1, 0, s29
	s_cselect_b32 s0, 0, s28
	s_and_b32 vcc_lo, exec_lo, s9
	s_cbranch_vccnz .LBB14_2
; %bb.1:
	s_load_dword s0, s[26:27], 0x0
	s_waitcnt lgkmcnt(0)
	v_mov_b32_e32 v18, s0
	s_mov_b64 s[0:1], s[28:29]
	s_branch .LBB14_3
.LBB14_2:
	v_cndmask_b32_e64 v18, s26, 0, s7
.LBB14_3:
	v_mov_b32_e32 v3, s1
	v_cndmask_b32_e64 v1, 0, 1, s8
	v_mov_b32_e32 v2, s0
	s_andn2_b32 vcc_lo, exec_lo, s8
	s_cbranch_vccnz .LBB14_5
; %bb.4:
	v_mov_b32_e32 v2, s28
	v_mov_b32_e32 v3, s29
	flat_load_dwordx2 v[2:3], v[2:3]
.LBB14_5:
	s_and_b32 s0, s7, exec_lo
	s_cselect_b32 s1, 0, s31
	v_cmp_ne_u32_e32 vcc_lo, 1, v1
	s_cselect_b32 s0, 0, s30
	v_mov_b32_e32 v5, s1
	v_mov_b32_e32 v4, s0
	s_cbranch_vccnz .LBB14_7
; %bb.6:
	v_mov_b32_e32 v4, s30
	v_mov_b32_e32 v5, s31
	flat_load_dwordx2 v[4:5], v[4:5]
.LBB14_7:
	s_load_dword s0, s[4:5], 0x0
	v_and_b32_e32 v10, 0xe0, v0
	v_lshrrev_b32_e32 v1, 5, v0
	s_lshl_b32 s1, s6, 3
	v_and_b32_e32 v17, 31, v0
	v_mov_b32_e32 v6, -1
	v_lshl_or_b32 v19, v10, 2, 0x400
	v_and_or_b32 v0, 0x7fffff8, s1, v1
	v_lshl_or_b32 v1, v17, 2, v19
	ds_write_b32 v1, v6
	s_waitcnt vmcnt(0) lgkmcnt(0)
	buffer_gl0_inv
	v_cmp_gt_i32_e32 vcc_lo, s0, v0
	s_and_saveexec_b32 s0, vcc_lo
	s_cbranch_execz .LBB14_79
; %bb.8:
	s_load_dwordx16 s[8:23], s[4:5], 0x8
	v_lshlrev_b32_e32 v0, 2, v0
	v_lshlrev_b32_e32 v20, 2, v10
	s_mov_b32 s0, exec_lo
	s_waitcnt lgkmcnt(0)
	global_load_dword v6, v0, s[18:19]
	s_waitcnt vmcnt(0)
	v_ashrrev_i32_e32 v7, 31, v6
	v_lshlrev_b64 v[0:1], 2, v[6:7]
	v_add_co_u32 v7, vcc_lo, s8, v0
	v_add_co_ci_u32_e64 v8, null, s9, v1, vcc_lo
	v_add_co_u32 v11, vcc_lo, s14, v0
	v_add_co_ci_u32_e64 v12, null, s15, v1, vcc_lo
	global_load_dwordx2 v[8:9], v[7:8], off
	global_load_dword v7, v[11:12], off
	s_waitcnt vmcnt(1)
	v_subrev_nc_u32_e32 v8, s2, v8
	v_subrev_nc_u32_e32 v11, s2, v9
	v_add_nc_u32_e32 v9, v8, v17
	v_cmpx_lt_i32_e64 v9, v11
	s_cbranch_execz .LBB14_31
; %bb.9:
	v_mov_b32_e32 v12, -1
	s_mov_b32 s1, 0
	s_branch .LBB14_11
.LBB14_10:                              ;   in Loop: Header=BB14_11 Depth=1
	s_or_b32 exec_lo, exec_lo, s6
	v_add_nc_u32_e32 v9, 32, v9
	v_cmp_ge_i32_e32 vcc_lo, v9, v11
	s_or_b32 s1, vcc_lo, s1
	s_andn2_b32 exec_lo, exec_lo, s1
	s_cbranch_execz .LBB14_31
.LBB14_11:                              ; =>This Loop Header: Depth=1
                                        ;     Child Loop BB14_20 Depth 2
	v_ashrrev_i32_e32 v10, 31, v9
	s_mov_b32 s6, 0
                                        ; implicit-def: $sgpr7
                                        ; implicit-def: $sgpr18
                                        ; implicit-def: $sgpr19
	v_lshlrev_b64 v[13:14], 2, v[9:10]
	v_add_co_u32 v13, vcc_lo, s10, v13
	v_add_co_ci_u32_e64 v14, null, s11, v14, vcc_lo
	global_load_dword v10, v[13:14], off
	v_mov_b32_e32 v13, 32
	s_waitcnt vmcnt(0)
	v_mul_lo_u32 v15, v10, 7
	s_branch .LBB14_20
.LBB14_12:                              ;   in Loop: Header=BB14_20 Depth=2
	s_or_b32 exec_lo, exec_lo, s36
	s_orn2_b32 s34, s34, exec_lo
	s_orn2_b32 s35, s35, exec_lo
.LBB14_13:                              ;   in Loop: Header=BB14_20 Depth=2
	s_or_b32 exec_lo, exec_lo, s33
	s_and_b32 s34, s34, exec_lo
	s_orn2_b32 s33, s35, exec_lo
.LBB14_14:                              ;   in Loop: Header=BB14_20 Depth=2
	s_or_b32 exec_lo, exec_lo, s31
	s_orn2_b32 s31, s34, exec_lo
	s_orn2_b32 s33, s33, exec_lo
.LBB14_15:                              ;   in Loop: Header=BB14_20 Depth=2
	s_or_b32 exec_lo, exec_lo, s30
	s_and_b32 s31, s31, exec_lo
	s_orn2_b32 s30, s33, exec_lo
.LBB14_16:                              ;   in Loop: Header=BB14_20 Depth=2
	s_or_b32 exec_lo, exec_lo, s29
	s_orn2_b32 s29, s31, exec_lo
	s_orn2_b32 s30, s30, exec_lo
.LBB14_17:                              ;   in Loop: Header=BB14_20 Depth=2
	s_or_b32 exec_lo, exec_lo, s28
	s_and_b32 s29, s29, exec_lo
	s_orn2_b32 s28, s30, exec_lo
.LBB14_18:                              ;   in Loop: Header=BB14_20 Depth=2
	s_or_b32 exec_lo, exec_lo, s27
	s_andn2_b32 s19, s19, exec_lo
	s_and_b32 s27, s29, exec_lo
	s_andn2_b32 s18, s18, exec_lo
	s_and_b32 s28, s28, exec_lo
	s_or_b32 s19, s19, s27
	s_or_b32 s18, s18, s28
.LBB14_19:                              ;   in Loop: Header=BB14_20 Depth=2
	s_or_b32 exec_lo, exec_lo, s26
	s_and_b32 s26, exec_lo, s18
	s_or_b32 s6, s26, s6
	s_andn2_b32 s7, s7, exec_lo
	s_and_b32 s26, s19, exec_lo
	s_or_b32 s7, s7, s26
	s_andn2_b32 exec_lo, exec_lo, s6
	s_cbranch_execz .LBB14_29
.LBB14_20:                              ;   Parent Loop BB14_11 Depth=1
                                        ; =>  This Inner Loop Header: Depth=2
	v_and_b32_e32 v14, 31, v15
	s_or_b32 s19, s19, exec_lo
	s_or_b32 s18, s18, exec_lo
	s_mov_b32 s26, exec_lo
	v_lshl_add_u32 v16, v14, 2, v19
	ds_read_b32 v21, v16
	s_waitcnt lgkmcnt(0)
	v_cmpx_ne_u32_e64 v21, v10
	s_cbranch_execz .LBB14_19
; %bb.21:                               ;   in Loop: Header=BB14_20 Depth=2
	ds_cmpst_rtn_b32 v16, v16, v12, v10
	s_mov_b32 s28, -1
	s_mov_b32 s29, 0
	s_mov_b32 s27, exec_lo
	s_waitcnt lgkmcnt(0)
	v_cmpx_ne_u32_e32 -1, v16
	s_cbranch_execz .LBB14_18
; %bb.22:                               ;   in Loop: Header=BB14_20 Depth=2
	v_add_nc_u32_e32 v14, 1, v15
	s_mov_b32 s30, -1
	s_mov_b32 s29, -1
	s_mov_b32 s28, exec_lo
	v_and_b32_e32 v14, 31, v14
	v_lshl_add_u32 v16, v14, 2, v19
	ds_read_b32 v21, v16
	s_waitcnt lgkmcnt(0)
	v_cmpx_ne_u32_e64 v21, v10
	s_cbranch_execz .LBB14_17
; %bb.23:                               ;   in Loop: Header=BB14_20 Depth=2
	ds_cmpst_rtn_b32 v16, v16, v12, v10
	s_mov_b32 s31, 0
	s_mov_b32 s29, exec_lo
	s_waitcnt lgkmcnt(0)
	v_cmpx_ne_u32_e32 -1, v16
	s_cbranch_execz .LBB14_16
; %bb.24:                               ;   in Loop: Header=BB14_20 Depth=2
	v_add_nc_u32_e32 v14, 2, v15
	s_mov_b32 s33, -1
	s_mov_b32 s31, -1
	s_mov_b32 s30, exec_lo
	v_and_b32_e32 v14, 31, v14
	v_lshl_add_u32 v16, v14, 2, v19
	ds_read_b32 v21, v16
	s_waitcnt lgkmcnt(0)
	v_cmpx_ne_u32_e64 v21, v10
	s_cbranch_execz .LBB14_15
; %bb.25:                               ;   in Loop: Header=BB14_20 Depth=2
	ds_cmpst_rtn_b32 v16, v16, v12, v10
	s_mov_b32 s34, 0
	s_mov_b32 s31, exec_lo
	s_waitcnt lgkmcnt(0)
	v_cmpx_ne_u32_e32 -1, v16
	s_cbranch_execz .LBB14_14
; %bb.26:                               ;   in Loop: Header=BB14_20 Depth=2
	v_add_nc_u32_e32 v14, 3, v15
	s_mov_b32 s35, -1
	s_mov_b32 s34, -1
	v_and_b32_e32 v14, 31, v14
	v_lshl_add_u32 v16, v14, 2, v19
	ds_read_b32 v15, v16
	s_waitcnt lgkmcnt(0)
	v_cmp_ne_u32_e32 vcc_lo, v15, v10
                                        ; implicit-def: $vgpr15
	s_and_saveexec_b32 s33, vcc_lo
	s_cbranch_execz .LBB14_13
; %bb.27:                               ;   in Loop: Header=BB14_20 Depth=2
	ds_cmpst_rtn_b32 v15, v16, v12, v10
	s_mov_b32 s34, 0
	s_waitcnt lgkmcnt(0)
	v_cmp_ne_u32_e32 vcc_lo, -1, v15
                                        ; implicit-def: $vgpr15
	s_and_saveexec_b32 s36, vcc_lo
	s_cbranch_execz .LBB14_12
; %bb.28:                               ;   in Loop: Header=BB14_20 Depth=2
	v_add_nc_u32_e32 v13, -4, v13
	v_add_nc_u32_e32 v15, 1, v14
	s_mov_b32 s34, exec_lo
	v_cmp_eq_u32_e32 vcc_lo, 0, v13
	s_orn2_b32 s35, vcc_lo, exec_lo
	s_branch .LBB14_12
.LBB14_29:                              ;   in Loop: Header=BB14_11 Depth=1
	s_or_b32 exec_lo, exec_lo, s6
	s_xor_b32 s6, s7, -1
	s_and_saveexec_b32 s7, s6
	s_xor_b32 s6, exec_lo, s7
	s_cbranch_execz .LBB14_10
; %bb.30:                               ;   in Loop: Header=BB14_11 Depth=1
	v_lshl_add_u32 v10, v14, 2, v20
	ds_write_b32 v10, v9
	s_branch .LBB14_10
.LBB14_31:
	s_or_b32 exec_lo, exec_lo, s0
	s_mov_b32 s0, exec_lo
	s_waitcnt vmcnt(0) lgkmcnt(0)
	buffer_gl0_inv
	v_cmpx_lt_i32_e64 v8, v7
	s_cbranch_execz .LBB14_61
; %bb.32:
	v_add_nc_u32_e32 v21, 1, v17
	s_mov_b32 s1, 0
	s_branch .LBB14_35
.LBB14_33:                              ;   in Loop: Header=BB14_35 Depth=1
	s_or_b32 exec_lo, exec_lo, s7
	v_add_nc_u32_e32 v8, 1, v8
	v_cmp_ge_i32_e32 vcc_lo, v8, v7
	s_orn2_b32 s7, vcc_lo, exec_lo
.LBB14_34:                              ;   in Loop: Header=BB14_35 Depth=1
	s_or_b32 exec_lo, exec_lo, s6
	s_and_b32 s6, exec_lo, s7
	s_or_b32 s1, s6, s1
	s_andn2_b32 exec_lo, exec_lo, s1
	s_cbranch_execz .LBB14_61
.LBB14_35:                              ; =>This Loop Header: Depth=1
                                        ;     Child Loop BB14_36 Depth 2
                                        ;     Child Loop BB14_41 Depth 2
                                        ;       Child Loop BB14_50 Depth 3
	v_ashrrev_i32_e32 v9, 31, v8
	s_mov_b32 s6, 0
	v_lshlrev_b64 v[10:11], 2, v[8:9]
	v_lshlrev_b64 v[12:13], 3, v[8:9]
	v_add_co_u32 v10, vcc_lo, s10, v10
	v_add_co_ci_u32_e64 v11, null, s11, v11, vcc_lo
	v_add_co_u32 v12, vcc_lo, s12, v12
	v_add_co_ci_u32_e64 v13, null, s13, v13, vcc_lo
	global_load_dword v10, v[10:11], off
	s_waitcnt vmcnt(0)
	v_subrev_nc_u32_e32 v10, s2, v10
	v_ashrrev_i32_e32 v11, 31, v10
	v_lshlrev_b64 v[14:15], 2, v[10:11]
	v_add_co_u32 v22, vcc_lo, s8, v14
	v_add_co_ci_u32_e64 v23, null, s9, v15, vcc_lo
	v_add_co_u32 v24, vcc_lo, s14, v14
	v_add_co_ci_u32_e64 v25, null, s15, v15, vcc_lo
	global_load_dwordx2 v[9:10], v[12:13], off
	global_load_dword v11, v[22:23], off offset:4
	global_load_dword v16, v[24:25], off
	v_add_co_u32 v14, vcc_lo, s16, v14
	v_add_co_ci_u32_e64 v15, null, s17, v15, vcc_lo
.LBB14_36:                              ;   Parent Loop BB14_35 Depth=1
                                        ; =>  This Inner Loop Header: Depth=2
	global_load_dword v22, v[14:15], off glc dlc
	s_waitcnt vmcnt(0)
	v_cmp_ne_u32_e32 vcc_lo, 0, v22
	s_or_b32 s6, vcc_lo, s6
	s_andn2_b32 exec_lo, exec_lo, s6
	s_cbranch_execnz .LBB14_36
; %bb.37:                               ;   in Loop: Header=BB14_35 Depth=1
	s_or_b32 exec_lo, exec_lo, s6
	v_subrev_nc_u32_e32 v22, s2, v11
	v_cmp_eq_u32_e32 vcc_lo, -1, v16
	buffer_gl1_inv
	buffer_gl0_inv
	s_mov_b32 s7, -1
	s_mov_b32 s6, exec_lo
	v_add_nc_u32_e32 v11, -1, v22
	v_cndmask_b32_e32 v14, v16, v11, vcc_lo
	v_ashrrev_i32_e32 v15, 31, v14
	v_lshlrev_b64 v[15:16], 3, v[14:15]
	v_add_co_u32 v15, vcc_lo, s12, v15
	v_add_co_ci_u32_e64 v16, null, s13, v16, vcc_lo
	global_load_dwordx2 v[15:16], v[15:16], off
	s_waitcnt vmcnt(0)
	v_cmpx_neq_f64_e32 0, v[15:16]
	s_cbranch_execz .LBB14_34
; %bb.38:                               ;   in Loop: Header=BB14_35 Depth=1
	v_div_scale_f64 v[23:24], null, v[15:16], v[15:16], v[9:10]
	v_add_nc_u32_e32 v11, v21, v14
	s_mov_b32 s7, exec_lo
	v_rcp_f64_e32 v[25:26], v[23:24]
	v_fma_f64 v[27:28], -v[23:24], v[25:26], 1.0
	v_fma_f64 v[25:26], v[25:26], v[27:28], v[25:26]
	v_fma_f64 v[27:28], -v[23:24], v[25:26], 1.0
	v_fma_f64 v[25:26], v[25:26], v[27:28], v[25:26]
	v_div_scale_f64 v[27:28], vcc_lo, v[9:10], v[15:16], v[9:10]
	v_mul_f64 v[29:30], v[27:28], v[25:26]
	v_fma_f64 v[23:24], -v[23:24], v[29:30], v[27:28]
	v_div_fmas_f64 v[23:24], v[23:24], v[25:26], v[29:30]
	v_div_fixup_f64 v[9:10], v[23:24], v[15:16], v[9:10]
	global_store_dwordx2 v[12:13], v[9:10], off
	v_cmpx_lt_i32_e64 v11, v22
	s_cbranch_execz .LBB14_33
; %bb.39:                               ;   in Loop: Header=BB14_35 Depth=1
	s_mov_b32 s18, 0
	s_branch .LBB14_41
.LBB14_40:                              ;   in Loop: Header=BB14_41 Depth=2
	s_or_b32 exec_lo, exec_lo, s19
	v_add_nc_u32_e32 v11, 32, v11
	v_cmp_ge_i32_e32 vcc_lo, v11, v22
	s_or_b32 s18, vcc_lo, s18
	s_andn2_b32 exec_lo, exec_lo, s18
	s_cbranch_execz .LBB14_33
.LBB14_41:                              ;   Parent Loop BB14_35 Depth=1
                                        ; =>  This Loop Header: Depth=2
                                        ;       Child Loop BB14_50 Depth 3
	v_ashrrev_i32_e32 v12, 31, v11
	s_mov_b32 s19, 0
                                        ; implicit-def: $sgpr26
                                        ; implicit-def: $sgpr27
                                        ; implicit-def: $sgpr28
	v_lshlrev_b64 v[13:14], 2, v[11:12]
	v_add_co_u32 v13, vcc_lo, s10, v13
	v_add_co_ci_u32_e64 v14, null, s11, v14, vcc_lo
	global_load_dword v13, v[13:14], off
	v_mov_b32_e32 v14, 32
	s_waitcnt vmcnt(0)
	v_mul_lo_u32 v16, v13, 7
	s_branch .LBB14_50
.LBB14_42:                              ;   in Loop: Header=BB14_50 Depth=3
	s_or_b32 exec_lo, exec_lo, s39
	s_orn2_b32 s37, s37, exec_lo
	s_orn2_b32 s38, s38, exec_lo
.LBB14_43:                              ;   in Loop: Header=BB14_50 Depth=3
	s_or_b32 exec_lo, exec_lo, s36
	s_and_b32 s37, s37, exec_lo
	s_orn2_b32 s36, s38, exec_lo
.LBB14_44:                              ;   in Loop: Header=BB14_50 Depth=3
	s_or_b32 exec_lo, exec_lo, s35
	s_orn2_b32 s35, s37, exec_lo
	s_orn2_b32 s36, s36, exec_lo
.LBB14_45:                              ;   in Loop: Header=BB14_50 Depth=3
	s_or_b32 exec_lo, exec_lo, s34
	s_and_b32 s35, s35, exec_lo
	s_orn2_b32 s34, s36, exec_lo
.LBB14_46:                              ;   in Loop: Header=BB14_50 Depth=3
	s_or_b32 exec_lo, exec_lo, s33
	s_orn2_b32 s33, s35, exec_lo
	s_orn2_b32 s34, s34, exec_lo
.LBB14_47:                              ;   in Loop: Header=BB14_50 Depth=3
	s_or_b32 exec_lo, exec_lo, s31
	s_and_b32 s33, s33, exec_lo
	s_orn2_b32 s31, s34, exec_lo
.LBB14_48:                              ;   in Loop: Header=BB14_50 Depth=3
	s_or_b32 exec_lo, exec_lo, s30
	s_andn2_b32 s28, s28, exec_lo
	s_and_b32 s30, s33, exec_lo
	s_andn2_b32 s27, s27, exec_lo
	s_and_b32 s31, s31, exec_lo
	s_or_b32 s28, s28, s30
	s_or_b32 s27, s27, s31
.LBB14_49:                              ;   in Loop: Header=BB14_50 Depth=3
	s_or_b32 exec_lo, exec_lo, s29
	s_and_b32 s29, exec_lo, s27
	s_or_b32 s19, s29, s19
	s_andn2_b32 s26, s26, exec_lo
	s_and_b32 s29, s28, exec_lo
	s_or_b32 s26, s26, s29
	s_andn2_b32 exec_lo, exec_lo, s19
	s_cbranch_execz .LBB14_59
.LBB14_50:                              ;   Parent Loop BB14_35 Depth=1
                                        ;     Parent Loop BB14_41 Depth=2
                                        ; =>    This Inner Loop Header: Depth=3
	v_and_b32_e32 v15, 31, v16
	s_or_b32 s28, s28, exec_lo
	s_or_b32 s27, s27, exec_lo
	s_mov_b32 s29, exec_lo
	v_lshl_add_u32 v23, v15, 2, v19
	ds_read_b32 v23, v23
	s_waitcnt lgkmcnt(0)
	v_cmpx_ne_u32_e32 -1, v23
	s_cbranch_execz .LBB14_49
; %bb.51:                               ;   in Loop: Header=BB14_50 Depth=3
	s_mov_b32 s31, -1
	s_mov_b32 s33, 0
	s_mov_b32 s30, exec_lo
	v_cmpx_ne_u32_e64 v23, v13
	s_cbranch_execz .LBB14_48
; %bb.52:                               ;   in Loop: Header=BB14_50 Depth=3
	v_add_nc_u32_e32 v15, 1, v16
	s_mov_b32 s34, -1
	s_mov_b32 s33, -1
	s_mov_b32 s31, exec_lo
	v_and_b32_e32 v15, 31, v15
	v_lshl_add_u32 v23, v15, 2, v19
	ds_read_b32 v23, v23
	s_waitcnt lgkmcnt(0)
	v_cmpx_ne_u32_e32 -1, v23
	s_cbranch_execz .LBB14_47
; %bb.53:                               ;   in Loop: Header=BB14_50 Depth=3
	s_mov_b32 s35, 0
	s_mov_b32 s33, exec_lo
	v_cmpx_ne_u32_e64 v23, v13
	s_cbranch_execz .LBB14_46
; %bb.54:                               ;   in Loop: Header=BB14_50 Depth=3
	v_add_nc_u32_e32 v15, 2, v16
	s_mov_b32 s36, -1
	s_mov_b32 s35, -1
	s_mov_b32 s34, exec_lo
	v_and_b32_e32 v15, 31, v15
	v_lshl_add_u32 v23, v15, 2, v19
	ds_read_b32 v23, v23
	s_waitcnt lgkmcnt(0)
	v_cmpx_ne_u32_e32 -1, v23
	s_cbranch_execz .LBB14_45
; %bb.55:                               ;   in Loop: Header=BB14_50 Depth=3
	s_mov_b32 s37, 0
	s_mov_b32 s35, exec_lo
	v_cmpx_ne_u32_e64 v23, v13
	s_cbranch_execz .LBB14_44
; %bb.56:                               ;   in Loop: Header=BB14_50 Depth=3
	v_add_nc_u32_e32 v15, 3, v16
	s_mov_b32 s38, -1
	s_mov_b32 s37, -1
	s_mov_b32 s36, exec_lo
	v_and_b32_e32 v15, 31, v15
	v_lshl_add_u32 v16, v15, 2, v19
	ds_read_b32 v23, v16
                                        ; implicit-def: $vgpr16
	s_waitcnt lgkmcnt(0)
	v_cmpx_ne_u32_e32 -1, v23
	s_cbranch_execz .LBB14_43
; %bb.57:                               ;   in Loop: Header=BB14_50 Depth=3
	s_mov_b32 s37, 0
	s_mov_b32 s39, exec_lo
                                        ; implicit-def: $vgpr16
	v_cmpx_ne_u32_e64 v23, v13
	s_cbranch_execz .LBB14_42
; %bb.58:                               ;   in Loop: Header=BB14_50 Depth=3
	v_add_nc_u32_e32 v14, -4, v14
	v_add_nc_u32_e32 v16, 1, v15
	s_mov_b32 s37, exec_lo
	v_cmp_eq_u32_e32 vcc_lo, 0, v14
	s_orn2_b32 s38, vcc_lo, exec_lo
	s_branch .LBB14_42
.LBB14_59:                              ;   in Loop: Header=BB14_41 Depth=2
	s_or_b32 exec_lo, exec_lo, s19
	s_xor_b32 s19, s26, -1
	s_and_saveexec_b32 s26, s19
	s_xor_b32 s19, exec_lo, s26
	s_cbranch_execz .LBB14_40
; %bb.60:                               ;   in Loop: Header=BB14_41 Depth=2
	v_lshl_add_u32 v13, v15, 2, v20
	v_lshlrev_b64 v[15:16], 3, v[11:12]
	ds_read_b32 v13, v13
	s_waitcnt lgkmcnt(0)
	v_ashrrev_i32_e32 v14, 31, v13
	v_lshlrev_b64 v[12:13], 3, v[13:14]
	v_add_co_u32 v14, vcc_lo, s12, v15
	v_add_co_ci_u32_e64 v15, null, s13, v16, vcc_lo
	v_add_co_u32 v12, vcc_lo, s12, v12
	v_add_co_ci_u32_e64 v13, null, s13, v13, vcc_lo
	s_clause 0x1
	global_load_dwordx2 v[14:15], v[14:15], off
	global_load_dwordx2 v[23:24], v[12:13], off
	s_waitcnt vmcnt(0)
	v_fma_f64 v[14:15], -v[9:10], v[14:15], v[23:24]
	global_store_dwordx2 v[12:13], v[14:15], off
	s_branch .LBB14_40
.LBB14_61:
	s_or_b32 exec_lo, exec_lo, s0
	s_mov_b32 s6, -1
	s_mov_b32 s1, exec_lo
	s_waitcnt_vscnt null, 0x0
	buffer_gl0_inv
	v_cmpx_lt_i32_e32 -1, v7
	s_cbranch_execz .LBB14_77
; %bb.62:
	v_mov_b32_e32 v8, 0
	v_cmp_eq_u32_e64 s0, 0, v17
	v_lshlrev_b64 v[7:8], 3, v[7:8]
	v_add_co_u32 v11, vcc_lo, s12, v7
	v_add_co_ci_u32_e64 v12, null, s13, v8, vcc_lo
	global_load_dwordx2 v[7:8], v[11:12], off
	s_waitcnt vmcnt(0)
	v_cmp_gt_f64_e32 vcc_lo, 0, v[7:8]
	v_xor_b32_e32 v10, 0x80000000, v8
	v_mov_b32_e32 v9, v7
	v_cndmask_b32_e32 v10, v8, v10, vcc_lo
	s_andn2_b32 vcc_lo, exec_lo, s3
	s_cbranch_vccnz .LBB14_66
; %bb.63:
	v_cvt_f64_f32_e32 v[13:14], v18
	s_cmp_eq_u64 s[24:25], 8
	s_cselect_b32 vcc_lo, -1, 0
	v_cndmask_b32_e32 v3, v14, v3, vcc_lo
	v_cndmask_b32_e32 v2, v13, v2, vcc_lo
	v_cmp_le_f64_e32 vcc_lo, v[9:10], v[2:3]
	s_and_b32 s6, s0, vcc_lo
	s_and_saveexec_b32 s3, s6
	s_cbranch_execz .LBB14_65
; %bb.64:
	global_store_dwordx2 v[11:12], v[4:5], off
	s_waitcnt_vscnt null, 0x0
	buffer_gl1_inv
	buffer_gl0_inv
.LBB14_65:
	s_or_b32 exec_lo, exec_lo, s3
	s_mov_b32 s6, 0
.LBB14_66:
	s_andn2_b32 vcc_lo, exec_lo, s6
	s_cbranch_vccnz .LBB14_77
; %bb.67:
	s_load_dwordx2 s[4:5], s[4:5], 0x48
	v_add_nc_u32_e32 v2, s2, v6
	s_waitcnt lgkmcnt(0)
	v_cmp_ge_f64_e32 vcc_lo, s[4:5], v[9:10]
	s_and_b32 s3, s0, vcc_lo
	s_and_saveexec_b32 s2, s3
	s_cbranch_execz .LBB14_72
; %bb.68:
	s_mov_b32 s4, exec_lo
	s_brev_b32 s3, -2
.LBB14_69:                              ; =>This Inner Loop Header: Depth=1
	s_ff1_i32_b32 s5, s4
	v_readlane_b32 s6, v2, s5
	s_lshl_b32 s5, 1, s5
	s_andn2_b32 s4, s4, s5
	s_min_i32 s3, s3, s6
	s_cmp_lg_u32 s4, 0
	s_cbranch_scc1 .LBB14_69
; %bb.70:
	v_mbcnt_lo_u32_b32 v3, exec_lo, 0
	s_mov_b32 s4, exec_lo
	v_cmpx_eq_u32_e32 0, v3
	s_xor_b32 s4, exec_lo, s4
	s_cbranch_execz .LBB14_72
; %bb.71:
	v_mov_b32_e32 v3, 0
	v_mov_b32_e32 v4, s3
	global_atomic_smin v3, v4, s[22:23]
.LBB14_72:
	s_or_b32 exec_lo, exec_lo, s2
	v_cmp_eq_f64_e32 vcc_lo, 0, v[7:8]
	s_and_b32 s0, s0, vcc_lo
	s_and_b32 exec_lo, exec_lo, s0
	s_cbranch_execz .LBB14_77
; %bb.73:
	s_mov_b32 s2, exec_lo
	s_brev_b32 s0, -2
.LBB14_74:                              ; =>This Inner Loop Header: Depth=1
	s_ff1_i32_b32 s3, s2
	v_readlane_b32 s4, v2, s3
	s_lshl_b32 s3, 1, s3
	s_andn2_b32 s2, s2, s3
	s_min_i32 s0, s0, s4
	s_cmp_lg_u32 s2, 0
	s_cbranch_scc1 .LBB14_74
; %bb.75:
	v_mbcnt_lo_u32_b32 v2, exec_lo, 0
	s_mov_b32 s2, exec_lo
	v_cmpx_eq_u32_e32 0, v2
	s_xor_b32 s2, exec_lo, s2
	s_cbranch_execz .LBB14_77
; %bb.76:
	v_mov_b32_e32 v2, 0
	v_mov_b32_e32 v3, s0
	global_atomic_smin v2, v3, s[20:21]
.LBB14_77:
	s_or_b32 exec_lo, exec_lo, s1
	v_cmp_eq_u32_e32 vcc_lo, 0, v17
	s_waitcnt_vscnt null, 0x0
	buffer_gl1_inv
	buffer_gl0_inv
	s_and_b32 exec_lo, exec_lo, vcc_lo
	s_cbranch_execz .LBB14_79
; %bb.78:
	v_add_co_u32 v0, vcc_lo, s16, v0
	v_add_co_ci_u32_e64 v1, null, s17, v1, vcc_lo
	v_mov_b32_e32 v2, 1
	global_store_dword v[0:1], v2, off
.LBB14_79:
	s_endpgm
	.section	.rodata,"a",@progbits
	.p2align	6, 0x0
	.amdhsa_kernel _ZN9rocsparseL12csrilu0_hashILj256ELj32ELj1EdEEviPKiS2_PT2_S2_PiS2_S5_S5_d21rocsparse_index_base_imNS_24const_host_device_scalarIfEENS7_IdEENS7_IS3_EEb
		.amdhsa_group_segment_fixed_size 2048
		.amdhsa_private_segment_fixed_size 0
		.amdhsa_kernarg_size 124
		.amdhsa_user_sgpr_count 6
		.amdhsa_user_sgpr_private_segment_buffer 1
		.amdhsa_user_sgpr_dispatch_ptr 0
		.amdhsa_user_sgpr_queue_ptr 0
		.amdhsa_user_sgpr_kernarg_segment_ptr 1
		.amdhsa_user_sgpr_dispatch_id 0
		.amdhsa_user_sgpr_flat_scratch_init 0
		.amdhsa_user_sgpr_private_segment_size 0
		.amdhsa_wavefront_size32 1
		.amdhsa_uses_dynamic_stack 0
		.amdhsa_system_sgpr_private_segment_wavefront_offset 0
		.amdhsa_system_sgpr_workgroup_id_x 1
		.amdhsa_system_sgpr_workgroup_id_y 0
		.amdhsa_system_sgpr_workgroup_id_z 0
		.amdhsa_system_sgpr_workgroup_info 0
		.amdhsa_system_vgpr_workitem_id 0
		.amdhsa_next_free_vgpr 31
		.amdhsa_next_free_sgpr 40
		.amdhsa_reserve_vcc 1
		.amdhsa_reserve_flat_scratch 0
		.amdhsa_float_round_mode_32 0
		.amdhsa_float_round_mode_16_64 0
		.amdhsa_float_denorm_mode_32 3
		.amdhsa_float_denorm_mode_16_64 3
		.amdhsa_dx10_clamp 1
		.amdhsa_ieee_mode 1
		.amdhsa_fp16_overflow 0
		.amdhsa_workgroup_processor_mode 1
		.amdhsa_memory_ordered 1
		.amdhsa_forward_progress 1
		.amdhsa_shared_vgpr_count 0
		.amdhsa_exception_fp_ieee_invalid_op 0
		.amdhsa_exception_fp_denorm_src 0
		.amdhsa_exception_fp_ieee_div_zero 0
		.amdhsa_exception_fp_ieee_overflow 0
		.amdhsa_exception_fp_ieee_underflow 0
		.amdhsa_exception_fp_ieee_inexact 0
		.amdhsa_exception_int_div_zero 0
	.end_amdhsa_kernel
	.section	.text._ZN9rocsparseL12csrilu0_hashILj256ELj32ELj1EdEEviPKiS2_PT2_S2_PiS2_S5_S5_d21rocsparse_index_base_imNS_24const_host_device_scalarIfEENS7_IdEENS7_IS3_EEb,"axG",@progbits,_ZN9rocsparseL12csrilu0_hashILj256ELj32ELj1EdEEviPKiS2_PT2_S2_PiS2_S5_S5_d21rocsparse_index_base_imNS_24const_host_device_scalarIfEENS7_IdEENS7_IS3_EEb,comdat
.Lfunc_end14:
	.size	_ZN9rocsparseL12csrilu0_hashILj256ELj32ELj1EdEEviPKiS2_PT2_S2_PiS2_S5_S5_d21rocsparse_index_base_imNS_24const_host_device_scalarIfEENS7_IdEENS7_IS3_EEb, .Lfunc_end14-_ZN9rocsparseL12csrilu0_hashILj256ELj32ELj1EdEEviPKiS2_PT2_S2_PiS2_S5_S5_d21rocsparse_index_base_imNS_24const_host_device_scalarIfEENS7_IdEENS7_IS3_EEb
                                        ; -- End function
	.set _ZN9rocsparseL12csrilu0_hashILj256ELj32ELj1EdEEviPKiS2_PT2_S2_PiS2_S5_S5_d21rocsparse_index_base_imNS_24const_host_device_scalarIfEENS7_IdEENS7_IS3_EEb.num_vgpr, 31
	.set _ZN9rocsparseL12csrilu0_hashILj256ELj32ELj1EdEEviPKiS2_PT2_S2_PiS2_S5_S5_d21rocsparse_index_base_imNS_24const_host_device_scalarIfEENS7_IdEENS7_IS3_EEb.num_agpr, 0
	.set _ZN9rocsparseL12csrilu0_hashILj256ELj32ELj1EdEEviPKiS2_PT2_S2_PiS2_S5_S5_d21rocsparse_index_base_imNS_24const_host_device_scalarIfEENS7_IdEENS7_IS3_EEb.numbered_sgpr, 40
	.set _ZN9rocsparseL12csrilu0_hashILj256ELj32ELj1EdEEviPKiS2_PT2_S2_PiS2_S5_S5_d21rocsparse_index_base_imNS_24const_host_device_scalarIfEENS7_IdEENS7_IS3_EEb.num_named_barrier, 0
	.set _ZN9rocsparseL12csrilu0_hashILj256ELj32ELj1EdEEviPKiS2_PT2_S2_PiS2_S5_S5_d21rocsparse_index_base_imNS_24const_host_device_scalarIfEENS7_IdEENS7_IS3_EEb.private_seg_size, 0
	.set _ZN9rocsparseL12csrilu0_hashILj256ELj32ELj1EdEEviPKiS2_PT2_S2_PiS2_S5_S5_d21rocsparse_index_base_imNS_24const_host_device_scalarIfEENS7_IdEENS7_IS3_EEb.uses_vcc, 1
	.set _ZN9rocsparseL12csrilu0_hashILj256ELj32ELj1EdEEviPKiS2_PT2_S2_PiS2_S5_S5_d21rocsparse_index_base_imNS_24const_host_device_scalarIfEENS7_IdEENS7_IS3_EEb.uses_flat_scratch, 0
	.set _ZN9rocsparseL12csrilu0_hashILj256ELj32ELj1EdEEviPKiS2_PT2_S2_PiS2_S5_S5_d21rocsparse_index_base_imNS_24const_host_device_scalarIfEENS7_IdEENS7_IS3_EEb.has_dyn_sized_stack, 0
	.set _ZN9rocsparseL12csrilu0_hashILj256ELj32ELj1EdEEviPKiS2_PT2_S2_PiS2_S5_S5_d21rocsparse_index_base_imNS_24const_host_device_scalarIfEENS7_IdEENS7_IS3_EEb.has_recursion, 0
	.set _ZN9rocsparseL12csrilu0_hashILj256ELj32ELj1EdEEviPKiS2_PT2_S2_PiS2_S5_S5_d21rocsparse_index_base_imNS_24const_host_device_scalarIfEENS7_IdEENS7_IS3_EEb.has_indirect_call, 0
	.section	.AMDGPU.csdata,"",@progbits
; Kernel info:
; codeLenInByte = 2620
; TotalNumSgprs: 42
; NumVgprs: 31
; ScratchSize: 0
; MemoryBound: 0
; FloatMode: 240
; IeeeMode: 1
; LDSByteSize: 2048 bytes/workgroup (compile time only)
; SGPRBlocks: 0
; VGPRBlocks: 3
; NumSGPRsForWavesPerEU: 42
; NumVGPRsForWavesPerEU: 31
; Occupancy: 16
; WaveLimiterHint : 1
; COMPUTE_PGM_RSRC2:SCRATCH_EN: 0
; COMPUTE_PGM_RSRC2:USER_SGPR: 6
; COMPUTE_PGM_RSRC2:TRAP_HANDLER: 0
; COMPUTE_PGM_RSRC2:TGID_X_EN: 1
; COMPUTE_PGM_RSRC2:TGID_Y_EN: 0
; COMPUTE_PGM_RSRC2:TGID_Z_EN: 0
; COMPUTE_PGM_RSRC2:TIDIG_COMP_CNT: 0
	.section	.text._ZN9rocsparseL12csrilu0_hashILj256ELj32ELj2EdEEviPKiS2_PT2_S2_PiS2_S5_S5_d21rocsparse_index_base_imNS_24const_host_device_scalarIfEENS7_IdEENS7_IS3_EEb,"axG",@progbits,_ZN9rocsparseL12csrilu0_hashILj256ELj32ELj2EdEEviPKiS2_PT2_S2_PiS2_S5_S5_d21rocsparse_index_base_imNS_24const_host_device_scalarIfEENS7_IdEENS7_IS3_EEb,comdat
	.globl	_ZN9rocsparseL12csrilu0_hashILj256ELj32ELj2EdEEviPKiS2_PT2_S2_PiS2_S5_S5_d21rocsparse_index_base_imNS_24const_host_device_scalarIfEENS7_IdEENS7_IS3_EEb ; -- Begin function _ZN9rocsparseL12csrilu0_hashILj256ELj32ELj2EdEEviPKiS2_PT2_S2_PiS2_S5_S5_d21rocsparse_index_base_imNS_24const_host_device_scalarIfEENS7_IdEENS7_IS3_EEb
	.p2align	8
	.type	_ZN9rocsparseL12csrilu0_hashILj256ELj32ELj2EdEEviPKiS2_PT2_S2_PiS2_S5_S5_d21rocsparse_index_base_imNS_24const_host_device_scalarIfEENS7_IdEENS7_IS3_EEb,@function
_ZN9rocsparseL12csrilu0_hashILj256ELj32ELj2EdEEviPKiS2_PT2_S2_PiS2_S5_S5_d21rocsparse_index_base_imNS_24const_host_device_scalarIfEENS7_IdEENS7_IS3_EEb: ; @_ZN9rocsparseL12csrilu0_hashILj256ELj32ELj2EdEEviPKiS2_PT2_S2_PiS2_S5_S5_d21rocsparse_index_base_imNS_24const_host_device_scalarIfEENS7_IdEENS7_IS3_EEb
; %bb.0:
	s_clause 0x2
	s_load_dword s0, s[4:5], 0x78
	s_load_dwordx2 s[2:3], s[4:5], 0x50
	s_load_dwordx8 s[24:31], s[4:5], 0x58
	s_waitcnt lgkmcnt(0)
	s_bitcmp1_b32 s0, 0
	s_cselect_b32 s0, -1, 0
	s_cmp_eq_u32 s3, 0
	s_cselect_b32 s7, -1, 0
	s_cmp_lg_u32 s3, 0
	s_cselect_b32 s3, -1, 0
	s_or_b32 s9, s7, s0
	s_xor_b32 s8, s9, -1
	s_and_b32 s0, s7, exec_lo
	s_cselect_b32 s1, 0, s29
	s_cselect_b32 s0, 0, s28
	s_and_b32 vcc_lo, exec_lo, s9
	s_cbranch_vccnz .LBB15_2
; %bb.1:
	s_load_dword s0, s[26:27], 0x0
	s_waitcnt lgkmcnt(0)
	v_mov_b32_e32 v19, s0
	s_mov_b64 s[0:1], s[28:29]
	s_branch .LBB15_3
.LBB15_2:
	v_cndmask_b32_e64 v19, s26, 0, s7
.LBB15_3:
	v_mov_b32_e32 v4, s1
	v_cndmask_b32_e64 v1, 0, 1, s8
	v_mov_b32_e32 v3, s0
	s_andn2_b32 vcc_lo, exec_lo, s8
	s_cbranch_vccnz .LBB15_5
; %bb.4:
	v_mov_b32_e32 v2, s28
	v_mov_b32_e32 v3, s29
	flat_load_dwordx2 v[3:4], v[2:3]
.LBB15_5:
	s_and_b32 s0, s7, exec_lo
	s_cselect_b32 s1, 0, s31
	v_cmp_ne_u32_e32 vcc_lo, 1, v1
	s_cselect_b32 s0, 0, s30
	v_mov_b32_e32 v6, s1
	v_mov_b32_e32 v5, s0
	s_mov_b32 s0, 0
	s_cbranch_vccnz .LBB15_7
; %bb.6:
	v_mov_b32_e32 v1, s30
	v_mov_b32_e32 v2, s31
	flat_load_dwordx2 v[5:6], v[1:2]
.LBB15_7:
	v_lshrrev_b32_e32 v1, 5, v0
	v_and_b32_e32 v18, 31, v0
	v_lshlrev_b32_e32 v7, 8, v1
	v_lshlrev_b32_e32 v8, 2, v18
	v_or_b32_e32 v2, 0xffffffe0, v18
	v_or3_b32 v7, v7, v8, 0x800
	v_mov_b32_e32 v8, -1
.LBB15_8:                               ; =>This Inner Loop Header: Depth=1
	v_add_co_u32 v2, s1, v2, 32
	s_xor_b32 s1, s1, -1
	ds_write_b32 v7, v8
	v_add_nc_u32_e32 v7, 0x80, v7
	s_and_b32 s1, exec_lo, s1
	s_or_b32 s0, s1, s0
	s_andn2_b32 exec_lo, exec_lo, s0
	s_cbranch_execnz .LBB15_8
; %bb.9:
	s_or_b32 exec_lo, exec_lo, s0
	s_load_dword s0, s[4:5], 0x0
	s_lshl_b32 s1, s6, 3
	s_waitcnt vmcnt(0) lgkmcnt(0)
	buffer_gl0_inv
	v_and_or_b32 v1, 0x7fffff8, s1, v1
	v_cmp_gt_i32_e32 vcc_lo, s0, v1
	s_and_saveexec_b32 s0, vcc_lo
	s_cbranch_execz .LBB15_81
; %bb.10:
	s_load_dwordx16 s[8:23], s[4:5], 0x8
	v_lshlrev_b32_e32 v1, 2, v1
	v_lshlrev_b32_e32 v0, 3, v0
	s_mov_b32 s0, exec_lo
	v_and_b32_e32 v0, 0x700, v0
	v_or_b32_e32 v20, 0x800, v0
	s_waitcnt lgkmcnt(0)
	global_load_dword v7, v1, s[18:19]
	s_waitcnt vmcnt(0)
	v_ashrrev_i32_e32 v8, 31, v7
	v_lshlrev_b64 v[1:2], 2, v[7:8]
	v_add_co_u32 v8, vcc_lo, s8, v1
	v_add_co_ci_u32_e64 v9, null, s9, v2, vcc_lo
	v_add_co_u32 v11, vcc_lo, s14, v1
	v_add_co_ci_u32_e64 v12, null, s15, v2, vcc_lo
	global_load_dwordx2 v[9:10], v[8:9], off
	global_load_dword v8, v[11:12], off
	s_waitcnt vmcnt(1)
	v_subrev_nc_u32_e32 v9, s2, v9
	v_subrev_nc_u32_e32 v12, s2, v10
	v_add_nc_u32_e32 v10, v9, v18
	v_cmpx_lt_i32_e64 v10, v12
	s_cbranch_execz .LBB15_33
; %bb.11:
	v_mov_b32_e32 v13, -1
	s_mov_b32 s1, 0
	s_branch .LBB15_13
.LBB15_12:                              ;   in Loop: Header=BB15_13 Depth=1
	s_or_b32 exec_lo, exec_lo, s6
	v_add_nc_u32_e32 v10, 32, v10
	v_cmp_ge_i32_e32 vcc_lo, v10, v12
	s_or_b32 s1, vcc_lo, s1
	s_andn2_b32 exec_lo, exec_lo, s1
	s_cbranch_execz .LBB15_33
.LBB15_13:                              ; =>This Loop Header: Depth=1
                                        ;     Child Loop BB15_22 Depth 2
	v_ashrrev_i32_e32 v11, 31, v10
	s_mov_b32 s6, 0
                                        ; implicit-def: $sgpr7
                                        ; implicit-def: $sgpr18
                                        ; implicit-def: $sgpr19
	v_lshlrev_b64 v[14:15], 2, v[10:11]
	v_add_co_u32 v14, vcc_lo, s10, v14
	v_add_co_ci_u32_e64 v15, null, s11, v15, vcc_lo
	global_load_dword v11, v[14:15], off
	v_mov_b32_e32 v14, 64
	s_waitcnt vmcnt(0)
	v_mul_lo_u32 v16, v11, 39
	s_branch .LBB15_22
.LBB15_14:                              ;   in Loop: Header=BB15_22 Depth=2
	s_or_b32 exec_lo, exec_lo, s36
	s_orn2_b32 s34, s34, exec_lo
	s_orn2_b32 s35, s35, exec_lo
.LBB15_15:                              ;   in Loop: Header=BB15_22 Depth=2
	s_or_b32 exec_lo, exec_lo, s33
	s_and_b32 s34, s34, exec_lo
	s_orn2_b32 s33, s35, exec_lo
.LBB15_16:                              ;   in Loop: Header=BB15_22 Depth=2
	s_or_b32 exec_lo, exec_lo, s31
	s_orn2_b32 s31, s34, exec_lo
	s_orn2_b32 s33, s33, exec_lo
.LBB15_17:                              ;   in Loop: Header=BB15_22 Depth=2
	s_or_b32 exec_lo, exec_lo, s30
	s_and_b32 s31, s31, exec_lo
	s_orn2_b32 s30, s33, exec_lo
.LBB15_18:                              ;   in Loop: Header=BB15_22 Depth=2
	s_or_b32 exec_lo, exec_lo, s29
	s_orn2_b32 s29, s31, exec_lo
	s_orn2_b32 s30, s30, exec_lo
.LBB15_19:                              ;   in Loop: Header=BB15_22 Depth=2
	s_or_b32 exec_lo, exec_lo, s28
	s_and_b32 s29, s29, exec_lo
	s_orn2_b32 s28, s30, exec_lo
.LBB15_20:                              ;   in Loop: Header=BB15_22 Depth=2
	s_or_b32 exec_lo, exec_lo, s27
	s_andn2_b32 s19, s19, exec_lo
	s_and_b32 s27, s29, exec_lo
	s_andn2_b32 s18, s18, exec_lo
	s_and_b32 s28, s28, exec_lo
	s_or_b32 s19, s19, s27
	s_or_b32 s18, s18, s28
.LBB15_21:                              ;   in Loop: Header=BB15_22 Depth=2
	s_or_b32 exec_lo, exec_lo, s26
	s_and_b32 s26, exec_lo, s18
	s_or_b32 s6, s26, s6
	s_andn2_b32 s7, s7, exec_lo
	s_and_b32 s26, s19, exec_lo
	s_or_b32 s7, s7, s26
	s_andn2_b32 exec_lo, exec_lo, s6
	s_cbranch_execz .LBB15_31
.LBB15_22:                              ;   Parent Loop BB15_13 Depth=1
                                        ; =>  This Inner Loop Header: Depth=2
	v_and_b32_e32 v15, 63, v16
	s_or_b32 s19, s19, exec_lo
	s_or_b32 s18, s18, exec_lo
	s_mov_b32 s26, exec_lo
	v_lshl_add_u32 v17, v15, 2, v20
	ds_read_b32 v21, v17
	s_waitcnt lgkmcnt(0)
	v_cmpx_ne_u32_e64 v21, v11
	s_cbranch_execz .LBB15_21
; %bb.23:                               ;   in Loop: Header=BB15_22 Depth=2
	ds_cmpst_rtn_b32 v17, v17, v13, v11
	s_mov_b32 s28, -1
	s_mov_b32 s29, 0
	s_mov_b32 s27, exec_lo
	s_waitcnt lgkmcnt(0)
	v_cmpx_ne_u32_e32 -1, v17
	s_cbranch_execz .LBB15_20
; %bb.24:                               ;   in Loop: Header=BB15_22 Depth=2
	v_add_nc_u32_e32 v15, 1, v16
	s_mov_b32 s30, -1
	s_mov_b32 s29, -1
	s_mov_b32 s28, exec_lo
	v_and_b32_e32 v15, 63, v15
	v_lshl_add_u32 v17, v15, 2, v20
	ds_read_b32 v21, v17
	s_waitcnt lgkmcnt(0)
	v_cmpx_ne_u32_e64 v21, v11
	s_cbranch_execz .LBB15_19
; %bb.25:                               ;   in Loop: Header=BB15_22 Depth=2
	ds_cmpst_rtn_b32 v17, v17, v13, v11
	s_mov_b32 s31, 0
	s_mov_b32 s29, exec_lo
	s_waitcnt lgkmcnt(0)
	v_cmpx_ne_u32_e32 -1, v17
	s_cbranch_execz .LBB15_18
; %bb.26:                               ;   in Loop: Header=BB15_22 Depth=2
	v_add_nc_u32_e32 v15, 2, v16
	s_mov_b32 s33, -1
	s_mov_b32 s31, -1
	s_mov_b32 s30, exec_lo
	v_and_b32_e32 v15, 63, v15
	v_lshl_add_u32 v17, v15, 2, v20
	ds_read_b32 v21, v17
	s_waitcnt lgkmcnt(0)
	v_cmpx_ne_u32_e64 v21, v11
	s_cbranch_execz .LBB15_17
; %bb.27:                               ;   in Loop: Header=BB15_22 Depth=2
	ds_cmpst_rtn_b32 v17, v17, v13, v11
	s_mov_b32 s34, 0
	s_mov_b32 s31, exec_lo
	s_waitcnt lgkmcnt(0)
	v_cmpx_ne_u32_e32 -1, v17
	s_cbranch_execz .LBB15_16
; %bb.28:                               ;   in Loop: Header=BB15_22 Depth=2
	v_add_nc_u32_e32 v15, 3, v16
	s_mov_b32 s35, -1
	s_mov_b32 s34, -1
	v_and_b32_e32 v15, 63, v15
	v_lshl_add_u32 v17, v15, 2, v20
	ds_read_b32 v16, v17
	s_waitcnt lgkmcnt(0)
	v_cmp_ne_u32_e32 vcc_lo, v16, v11
                                        ; implicit-def: $vgpr16
	s_and_saveexec_b32 s33, vcc_lo
	s_cbranch_execz .LBB15_15
; %bb.29:                               ;   in Loop: Header=BB15_22 Depth=2
	ds_cmpst_rtn_b32 v16, v17, v13, v11
	s_mov_b32 s34, 0
	s_waitcnt lgkmcnt(0)
	v_cmp_ne_u32_e32 vcc_lo, -1, v16
                                        ; implicit-def: $vgpr16
	s_and_saveexec_b32 s36, vcc_lo
	s_cbranch_execz .LBB15_14
; %bb.30:                               ;   in Loop: Header=BB15_22 Depth=2
	v_add_nc_u32_e32 v14, -4, v14
	v_add_nc_u32_e32 v16, 1, v15
	s_mov_b32 s34, exec_lo
	v_cmp_eq_u32_e32 vcc_lo, 0, v14
	s_orn2_b32 s35, vcc_lo, exec_lo
	s_branch .LBB15_14
.LBB15_31:                              ;   in Loop: Header=BB15_13 Depth=1
	s_or_b32 exec_lo, exec_lo, s6
	s_xor_b32 s6, s7, -1
	s_and_saveexec_b32 s7, s6
	s_xor_b32 s6, exec_lo, s7
	s_cbranch_execz .LBB15_12
; %bb.32:                               ;   in Loop: Header=BB15_13 Depth=1
	v_lshl_add_u32 v11, v15, 2, v0
	ds_write_b32 v11, v10
	s_branch .LBB15_12
.LBB15_33:
	s_or_b32 exec_lo, exec_lo, s0
	s_mov_b32 s0, exec_lo
	s_waitcnt vmcnt(0) lgkmcnt(0)
	buffer_gl0_inv
	v_cmpx_lt_i32_e64 v9, v8
	s_cbranch_execz .LBB15_63
; %bb.34:
	v_add_nc_u32_e32 v21, 1, v18
	s_mov_b32 s1, 0
	s_branch .LBB15_37
.LBB15_35:                              ;   in Loop: Header=BB15_37 Depth=1
	s_or_b32 exec_lo, exec_lo, s7
	v_add_nc_u32_e32 v9, 1, v9
	v_cmp_ge_i32_e32 vcc_lo, v9, v8
	s_orn2_b32 s7, vcc_lo, exec_lo
.LBB15_36:                              ;   in Loop: Header=BB15_37 Depth=1
	s_or_b32 exec_lo, exec_lo, s6
	s_and_b32 s6, exec_lo, s7
	s_or_b32 s1, s6, s1
	s_andn2_b32 exec_lo, exec_lo, s1
	s_cbranch_execz .LBB15_63
.LBB15_37:                              ; =>This Loop Header: Depth=1
                                        ;     Child Loop BB15_38 Depth 2
                                        ;     Child Loop BB15_43 Depth 2
                                        ;       Child Loop BB15_52 Depth 3
	v_ashrrev_i32_e32 v10, 31, v9
	s_mov_b32 s6, 0
	v_lshlrev_b64 v[11:12], 2, v[9:10]
	v_lshlrev_b64 v[13:14], 3, v[9:10]
	v_add_co_u32 v11, vcc_lo, s10, v11
	v_add_co_ci_u32_e64 v12, null, s11, v12, vcc_lo
	v_add_co_u32 v13, vcc_lo, s12, v13
	v_add_co_ci_u32_e64 v14, null, s13, v14, vcc_lo
	global_load_dword v11, v[11:12], off
	s_waitcnt vmcnt(0)
	v_subrev_nc_u32_e32 v11, s2, v11
	v_ashrrev_i32_e32 v12, 31, v11
	v_lshlrev_b64 v[15:16], 2, v[11:12]
	v_add_co_u32 v22, vcc_lo, s8, v15
	v_add_co_ci_u32_e64 v23, null, s9, v16, vcc_lo
	v_add_co_u32 v24, vcc_lo, s14, v15
	v_add_co_ci_u32_e64 v25, null, s15, v16, vcc_lo
	global_load_dwordx2 v[10:11], v[13:14], off
	global_load_dword v12, v[22:23], off offset:4
	global_load_dword v17, v[24:25], off
	v_add_co_u32 v15, vcc_lo, s16, v15
	v_add_co_ci_u32_e64 v16, null, s17, v16, vcc_lo
.LBB15_38:                              ;   Parent Loop BB15_37 Depth=1
                                        ; =>  This Inner Loop Header: Depth=2
	global_load_dword v22, v[15:16], off glc dlc
	s_waitcnt vmcnt(0)
	v_cmp_ne_u32_e32 vcc_lo, 0, v22
	s_or_b32 s6, vcc_lo, s6
	s_andn2_b32 exec_lo, exec_lo, s6
	s_cbranch_execnz .LBB15_38
; %bb.39:                               ;   in Loop: Header=BB15_37 Depth=1
	s_or_b32 exec_lo, exec_lo, s6
	v_subrev_nc_u32_e32 v22, s2, v12
	v_cmp_eq_u32_e32 vcc_lo, -1, v17
	buffer_gl1_inv
	buffer_gl0_inv
	s_mov_b32 s7, -1
	s_mov_b32 s6, exec_lo
	v_add_nc_u32_e32 v12, -1, v22
	v_cndmask_b32_e32 v15, v17, v12, vcc_lo
	v_ashrrev_i32_e32 v16, 31, v15
	v_lshlrev_b64 v[16:17], 3, v[15:16]
	v_add_co_u32 v16, vcc_lo, s12, v16
	v_add_co_ci_u32_e64 v17, null, s13, v17, vcc_lo
	global_load_dwordx2 v[16:17], v[16:17], off
	s_waitcnt vmcnt(0)
	v_cmpx_neq_f64_e32 0, v[16:17]
	s_cbranch_execz .LBB15_36
; %bb.40:                               ;   in Loop: Header=BB15_37 Depth=1
	v_div_scale_f64 v[23:24], null, v[16:17], v[16:17], v[10:11]
	v_add_nc_u32_e32 v12, v21, v15
	s_mov_b32 s7, exec_lo
	v_rcp_f64_e32 v[25:26], v[23:24]
	v_fma_f64 v[27:28], -v[23:24], v[25:26], 1.0
	v_fma_f64 v[25:26], v[25:26], v[27:28], v[25:26]
	v_fma_f64 v[27:28], -v[23:24], v[25:26], 1.0
	v_fma_f64 v[25:26], v[25:26], v[27:28], v[25:26]
	v_div_scale_f64 v[27:28], vcc_lo, v[10:11], v[16:17], v[10:11]
	v_mul_f64 v[29:30], v[27:28], v[25:26]
	v_fma_f64 v[23:24], -v[23:24], v[29:30], v[27:28]
	v_div_fmas_f64 v[23:24], v[23:24], v[25:26], v[29:30]
	v_div_fixup_f64 v[10:11], v[23:24], v[16:17], v[10:11]
	global_store_dwordx2 v[13:14], v[10:11], off
	v_cmpx_lt_i32_e64 v12, v22
	s_cbranch_execz .LBB15_35
; %bb.41:                               ;   in Loop: Header=BB15_37 Depth=1
	s_mov_b32 s18, 0
	s_branch .LBB15_43
.LBB15_42:                              ;   in Loop: Header=BB15_43 Depth=2
	s_or_b32 exec_lo, exec_lo, s19
	v_add_nc_u32_e32 v12, 32, v12
	v_cmp_ge_i32_e32 vcc_lo, v12, v22
	s_or_b32 s18, vcc_lo, s18
	s_andn2_b32 exec_lo, exec_lo, s18
	s_cbranch_execz .LBB15_35
.LBB15_43:                              ;   Parent Loop BB15_37 Depth=1
                                        ; =>  This Loop Header: Depth=2
                                        ;       Child Loop BB15_52 Depth 3
	v_ashrrev_i32_e32 v13, 31, v12
	s_mov_b32 s19, 0
                                        ; implicit-def: $sgpr26
                                        ; implicit-def: $sgpr27
                                        ; implicit-def: $sgpr28
	v_lshlrev_b64 v[14:15], 2, v[12:13]
	v_add_co_u32 v14, vcc_lo, s10, v14
	v_add_co_ci_u32_e64 v15, null, s11, v15, vcc_lo
	global_load_dword v14, v[14:15], off
	v_mov_b32_e32 v15, 64
	s_waitcnt vmcnt(0)
	v_mul_lo_u32 v17, v14, 39
	s_branch .LBB15_52
.LBB15_44:                              ;   in Loop: Header=BB15_52 Depth=3
	s_or_b32 exec_lo, exec_lo, s39
	s_orn2_b32 s37, s37, exec_lo
	s_orn2_b32 s38, s38, exec_lo
.LBB15_45:                              ;   in Loop: Header=BB15_52 Depth=3
	s_or_b32 exec_lo, exec_lo, s36
	s_and_b32 s37, s37, exec_lo
	s_orn2_b32 s36, s38, exec_lo
.LBB15_46:                              ;   in Loop: Header=BB15_52 Depth=3
	s_or_b32 exec_lo, exec_lo, s35
	s_orn2_b32 s35, s37, exec_lo
	s_orn2_b32 s36, s36, exec_lo
.LBB15_47:                              ;   in Loop: Header=BB15_52 Depth=3
	s_or_b32 exec_lo, exec_lo, s34
	s_and_b32 s35, s35, exec_lo
	s_orn2_b32 s34, s36, exec_lo
.LBB15_48:                              ;   in Loop: Header=BB15_52 Depth=3
	s_or_b32 exec_lo, exec_lo, s33
	s_orn2_b32 s33, s35, exec_lo
	s_orn2_b32 s34, s34, exec_lo
.LBB15_49:                              ;   in Loop: Header=BB15_52 Depth=3
	s_or_b32 exec_lo, exec_lo, s31
	s_and_b32 s33, s33, exec_lo
	s_orn2_b32 s31, s34, exec_lo
.LBB15_50:                              ;   in Loop: Header=BB15_52 Depth=3
	s_or_b32 exec_lo, exec_lo, s30
	s_andn2_b32 s28, s28, exec_lo
	s_and_b32 s30, s33, exec_lo
	s_andn2_b32 s27, s27, exec_lo
	s_and_b32 s31, s31, exec_lo
	s_or_b32 s28, s28, s30
	s_or_b32 s27, s27, s31
.LBB15_51:                              ;   in Loop: Header=BB15_52 Depth=3
	s_or_b32 exec_lo, exec_lo, s29
	s_and_b32 s29, exec_lo, s27
	s_or_b32 s19, s29, s19
	s_andn2_b32 s26, s26, exec_lo
	s_and_b32 s29, s28, exec_lo
	s_or_b32 s26, s26, s29
	s_andn2_b32 exec_lo, exec_lo, s19
	s_cbranch_execz .LBB15_61
.LBB15_52:                              ;   Parent Loop BB15_37 Depth=1
                                        ;     Parent Loop BB15_43 Depth=2
                                        ; =>    This Inner Loop Header: Depth=3
	v_and_b32_e32 v16, 63, v17
	s_or_b32 s28, s28, exec_lo
	s_or_b32 s27, s27, exec_lo
	s_mov_b32 s29, exec_lo
	v_lshl_add_u32 v23, v16, 2, v20
	ds_read_b32 v23, v23
	s_waitcnt lgkmcnt(0)
	v_cmpx_ne_u32_e32 -1, v23
	s_cbranch_execz .LBB15_51
; %bb.53:                               ;   in Loop: Header=BB15_52 Depth=3
	s_mov_b32 s31, -1
	s_mov_b32 s33, 0
	s_mov_b32 s30, exec_lo
	v_cmpx_ne_u32_e64 v23, v14
	s_cbranch_execz .LBB15_50
; %bb.54:                               ;   in Loop: Header=BB15_52 Depth=3
	v_add_nc_u32_e32 v16, 1, v17
	s_mov_b32 s34, -1
	s_mov_b32 s33, -1
	s_mov_b32 s31, exec_lo
	v_and_b32_e32 v16, 63, v16
	v_lshl_add_u32 v23, v16, 2, v20
	ds_read_b32 v23, v23
	s_waitcnt lgkmcnt(0)
	v_cmpx_ne_u32_e32 -1, v23
	s_cbranch_execz .LBB15_49
; %bb.55:                               ;   in Loop: Header=BB15_52 Depth=3
	s_mov_b32 s35, 0
	s_mov_b32 s33, exec_lo
	v_cmpx_ne_u32_e64 v23, v14
	s_cbranch_execz .LBB15_48
; %bb.56:                               ;   in Loop: Header=BB15_52 Depth=3
	v_add_nc_u32_e32 v16, 2, v17
	s_mov_b32 s36, -1
	s_mov_b32 s35, -1
	s_mov_b32 s34, exec_lo
	v_and_b32_e32 v16, 63, v16
	v_lshl_add_u32 v23, v16, 2, v20
	ds_read_b32 v23, v23
	s_waitcnt lgkmcnt(0)
	v_cmpx_ne_u32_e32 -1, v23
	s_cbranch_execz .LBB15_47
; %bb.57:                               ;   in Loop: Header=BB15_52 Depth=3
	s_mov_b32 s37, 0
	s_mov_b32 s35, exec_lo
	v_cmpx_ne_u32_e64 v23, v14
	s_cbranch_execz .LBB15_46
; %bb.58:                               ;   in Loop: Header=BB15_52 Depth=3
	v_add_nc_u32_e32 v16, 3, v17
	s_mov_b32 s38, -1
	s_mov_b32 s37, -1
	s_mov_b32 s36, exec_lo
	v_and_b32_e32 v16, 63, v16
	v_lshl_add_u32 v17, v16, 2, v20
	ds_read_b32 v23, v17
                                        ; implicit-def: $vgpr17
	s_waitcnt lgkmcnt(0)
	v_cmpx_ne_u32_e32 -1, v23
	s_cbranch_execz .LBB15_45
; %bb.59:                               ;   in Loop: Header=BB15_52 Depth=3
	s_mov_b32 s37, 0
	s_mov_b32 s39, exec_lo
                                        ; implicit-def: $vgpr17
	v_cmpx_ne_u32_e64 v23, v14
	s_cbranch_execz .LBB15_44
; %bb.60:                               ;   in Loop: Header=BB15_52 Depth=3
	v_add_nc_u32_e32 v15, -4, v15
	v_add_nc_u32_e32 v17, 1, v16
	s_mov_b32 s37, exec_lo
	v_cmp_eq_u32_e32 vcc_lo, 0, v15
	s_orn2_b32 s38, vcc_lo, exec_lo
	s_branch .LBB15_44
.LBB15_61:                              ;   in Loop: Header=BB15_43 Depth=2
	s_or_b32 exec_lo, exec_lo, s19
	s_xor_b32 s19, s26, -1
	s_and_saveexec_b32 s26, s19
	s_xor_b32 s19, exec_lo, s26
	s_cbranch_execz .LBB15_42
; %bb.62:                               ;   in Loop: Header=BB15_43 Depth=2
	v_lshl_add_u32 v14, v16, 2, v0
	v_lshlrev_b64 v[16:17], 3, v[12:13]
	ds_read_b32 v14, v14
	s_waitcnt lgkmcnt(0)
	v_ashrrev_i32_e32 v15, 31, v14
	v_lshlrev_b64 v[13:14], 3, v[14:15]
	v_add_co_u32 v15, vcc_lo, s12, v16
	v_add_co_ci_u32_e64 v16, null, s13, v17, vcc_lo
	v_add_co_u32 v13, vcc_lo, s12, v13
	v_add_co_ci_u32_e64 v14, null, s13, v14, vcc_lo
	s_clause 0x1
	global_load_dwordx2 v[15:16], v[15:16], off
	global_load_dwordx2 v[23:24], v[13:14], off
	s_waitcnt vmcnt(0)
	v_fma_f64 v[15:16], -v[10:11], v[15:16], v[23:24]
	global_store_dwordx2 v[13:14], v[15:16], off
	s_branch .LBB15_42
.LBB15_63:
	s_or_b32 exec_lo, exec_lo, s0
	s_mov_b32 s6, -1
	s_mov_b32 s1, exec_lo
	s_waitcnt_vscnt null, 0x0
	buffer_gl0_inv
	v_cmpx_lt_i32_e32 -1, v8
	s_cbranch_execz .LBB15_79
; %bb.64:
	v_mov_b32_e32 v9, 0
	v_cmp_eq_u32_e64 s0, 0, v18
	v_lshlrev_b64 v[8:9], 3, v[8:9]
	v_add_co_u32 v12, vcc_lo, s12, v8
	v_add_co_ci_u32_e64 v13, null, s13, v9, vcc_lo
	global_load_dwordx2 v[8:9], v[12:13], off
	s_waitcnt vmcnt(0)
	v_cmp_gt_f64_e32 vcc_lo, 0, v[8:9]
	v_xor_b32_e32 v0, 0x80000000, v9
	v_mov_b32_e32 v10, v8
	v_cndmask_b32_e32 v11, v9, v0, vcc_lo
	s_andn2_b32 vcc_lo, exec_lo, s3
	s_cbranch_vccnz .LBB15_68
; %bb.65:
	v_cvt_f64_f32_e32 v[14:15], v19
	s_cmp_eq_u64 s[24:25], 8
	s_cselect_b32 vcc_lo, -1, 0
	v_cndmask_b32_e32 v4, v15, v4, vcc_lo
	v_cndmask_b32_e32 v3, v14, v3, vcc_lo
	v_cmp_le_f64_e32 vcc_lo, v[10:11], v[3:4]
	s_and_b32 s6, s0, vcc_lo
	s_and_saveexec_b32 s3, s6
	s_cbranch_execz .LBB15_67
; %bb.66:
	global_store_dwordx2 v[12:13], v[5:6], off
	s_waitcnt_vscnt null, 0x0
	buffer_gl1_inv
	buffer_gl0_inv
.LBB15_67:
	s_or_b32 exec_lo, exec_lo, s3
	s_mov_b32 s6, 0
.LBB15_68:
	s_andn2_b32 vcc_lo, exec_lo, s6
	s_cbranch_vccnz .LBB15_79
; %bb.69:
	s_load_dwordx2 s[4:5], s[4:5], 0x48
	v_add_nc_u32_e32 v0, s2, v7
	s_waitcnt lgkmcnt(0)
	v_cmp_ge_f64_e32 vcc_lo, s[4:5], v[10:11]
	s_and_b32 s3, s0, vcc_lo
	s_and_saveexec_b32 s2, s3
	s_cbranch_execz .LBB15_74
; %bb.70:
	s_mov_b32 s4, exec_lo
	s_brev_b32 s3, -2
.LBB15_71:                              ; =>This Inner Loop Header: Depth=1
	s_ff1_i32_b32 s5, s4
	v_readlane_b32 s6, v0, s5
	s_lshl_b32 s5, 1, s5
	s_andn2_b32 s4, s4, s5
	s_min_i32 s3, s3, s6
	s_cmp_lg_u32 s4, 0
	s_cbranch_scc1 .LBB15_71
; %bb.72:
	v_mbcnt_lo_u32_b32 v3, exec_lo, 0
	s_mov_b32 s4, exec_lo
	v_cmpx_eq_u32_e32 0, v3
	s_xor_b32 s4, exec_lo, s4
	s_cbranch_execz .LBB15_74
; %bb.73:
	v_mov_b32_e32 v3, 0
	v_mov_b32_e32 v4, s3
	global_atomic_smin v3, v4, s[22:23]
.LBB15_74:
	s_or_b32 exec_lo, exec_lo, s2
	v_cmp_eq_f64_e32 vcc_lo, 0, v[8:9]
	s_and_b32 s0, s0, vcc_lo
	s_and_b32 exec_lo, exec_lo, s0
	s_cbranch_execz .LBB15_79
; %bb.75:
	s_mov_b32 s2, exec_lo
	s_brev_b32 s0, -2
.LBB15_76:                              ; =>This Inner Loop Header: Depth=1
	s_ff1_i32_b32 s3, s2
	v_readlane_b32 s4, v0, s3
	s_lshl_b32 s3, 1, s3
	s_andn2_b32 s2, s2, s3
	s_min_i32 s0, s0, s4
	s_cmp_lg_u32 s2, 0
	s_cbranch_scc1 .LBB15_76
; %bb.77:
	v_mbcnt_lo_u32_b32 v0, exec_lo, 0
	s_mov_b32 s2, exec_lo
	v_cmpx_eq_u32_e32 0, v0
	s_xor_b32 s2, exec_lo, s2
	s_cbranch_execz .LBB15_79
; %bb.78:
	v_mov_b32_e32 v0, 0
	v_mov_b32_e32 v3, s0
	global_atomic_smin v0, v3, s[20:21]
.LBB15_79:
	s_or_b32 exec_lo, exec_lo, s1
	v_cmp_eq_u32_e32 vcc_lo, 0, v18
	s_waitcnt_vscnt null, 0x0
	buffer_gl1_inv
	buffer_gl0_inv
	s_and_b32 exec_lo, exec_lo, vcc_lo
	s_cbranch_execz .LBB15_81
; %bb.80:
	v_add_co_u32 v0, vcc_lo, s16, v1
	v_add_co_ci_u32_e64 v1, null, s17, v2, vcc_lo
	v_mov_b32_e32 v2, 1
	global_store_dword v[0:1], v2, off
.LBB15_81:
	s_endpgm
	.section	.rodata,"a",@progbits
	.p2align	6, 0x0
	.amdhsa_kernel _ZN9rocsparseL12csrilu0_hashILj256ELj32ELj2EdEEviPKiS2_PT2_S2_PiS2_S5_S5_d21rocsparse_index_base_imNS_24const_host_device_scalarIfEENS7_IdEENS7_IS3_EEb
		.amdhsa_group_segment_fixed_size 4096
		.amdhsa_private_segment_fixed_size 0
		.amdhsa_kernarg_size 124
		.amdhsa_user_sgpr_count 6
		.amdhsa_user_sgpr_private_segment_buffer 1
		.amdhsa_user_sgpr_dispatch_ptr 0
		.amdhsa_user_sgpr_queue_ptr 0
		.amdhsa_user_sgpr_kernarg_segment_ptr 1
		.amdhsa_user_sgpr_dispatch_id 0
		.amdhsa_user_sgpr_flat_scratch_init 0
		.amdhsa_user_sgpr_private_segment_size 0
		.amdhsa_wavefront_size32 1
		.amdhsa_uses_dynamic_stack 0
		.amdhsa_system_sgpr_private_segment_wavefront_offset 0
		.amdhsa_system_sgpr_workgroup_id_x 1
		.amdhsa_system_sgpr_workgroup_id_y 0
		.amdhsa_system_sgpr_workgroup_id_z 0
		.amdhsa_system_sgpr_workgroup_info 0
		.amdhsa_system_vgpr_workitem_id 0
		.amdhsa_next_free_vgpr 31
		.amdhsa_next_free_sgpr 40
		.amdhsa_reserve_vcc 1
		.amdhsa_reserve_flat_scratch 0
		.amdhsa_float_round_mode_32 0
		.amdhsa_float_round_mode_16_64 0
		.amdhsa_float_denorm_mode_32 3
		.amdhsa_float_denorm_mode_16_64 3
		.amdhsa_dx10_clamp 1
		.amdhsa_ieee_mode 1
		.amdhsa_fp16_overflow 0
		.amdhsa_workgroup_processor_mode 1
		.amdhsa_memory_ordered 1
		.amdhsa_forward_progress 1
		.amdhsa_shared_vgpr_count 0
		.amdhsa_exception_fp_ieee_invalid_op 0
		.amdhsa_exception_fp_denorm_src 0
		.amdhsa_exception_fp_ieee_div_zero 0
		.amdhsa_exception_fp_ieee_overflow 0
		.amdhsa_exception_fp_ieee_underflow 0
		.amdhsa_exception_fp_ieee_inexact 0
		.amdhsa_exception_int_div_zero 0
	.end_amdhsa_kernel
	.section	.text._ZN9rocsparseL12csrilu0_hashILj256ELj32ELj2EdEEviPKiS2_PT2_S2_PiS2_S5_S5_d21rocsparse_index_base_imNS_24const_host_device_scalarIfEENS7_IdEENS7_IS3_EEb,"axG",@progbits,_ZN9rocsparseL12csrilu0_hashILj256ELj32ELj2EdEEviPKiS2_PT2_S2_PiS2_S5_S5_d21rocsparse_index_base_imNS_24const_host_device_scalarIfEENS7_IdEENS7_IS3_EEb,comdat
.Lfunc_end15:
	.size	_ZN9rocsparseL12csrilu0_hashILj256ELj32ELj2EdEEviPKiS2_PT2_S2_PiS2_S5_S5_d21rocsparse_index_base_imNS_24const_host_device_scalarIfEENS7_IdEENS7_IS3_EEb, .Lfunc_end15-_ZN9rocsparseL12csrilu0_hashILj256ELj32ELj2EdEEviPKiS2_PT2_S2_PiS2_S5_S5_d21rocsparse_index_base_imNS_24const_host_device_scalarIfEENS7_IdEENS7_IS3_EEb
                                        ; -- End function
	.set _ZN9rocsparseL12csrilu0_hashILj256ELj32ELj2EdEEviPKiS2_PT2_S2_PiS2_S5_S5_d21rocsparse_index_base_imNS_24const_host_device_scalarIfEENS7_IdEENS7_IS3_EEb.num_vgpr, 31
	.set _ZN9rocsparseL12csrilu0_hashILj256ELj32ELj2EdEEviPKiS2_PT2_S2_PiS2_S5_S5_d21rocsparse_index_base_imNS_24const_host_device_scalarIfEENS7_IdEENS7_IS3_EEb.num_agpr, 0
	.set _ZN9rocsparseL12csrilu0_hashILj256ELj32ELj2EdEEviPKiS2_PT2_S2_PiS2_S5_S5_d21rocsparse_index_base_imNS_24const_host_device_scalarIfEENS7_IdEENS7_IS3_EEb.numbered_sgpr, 40
	.set _ZN9rocsparseL12csrilu0_hashILj256ELj32ELj2EdEEviPKiS2_PT2_S2_PiS2_S5_S5_d21rocsparse_index_base_imNS_24const_host_device_scalarIfEENS7_IdEENS7_IS3_EEb.num_named_barrier, 0
	.set _ZN9rocsparseL12csrilu0_hashILj256ELj32ELj2EdEEviPKiS2_PT2_S2_PiS2_S5_S5_d21rocsparse_index_base_imNS_24const_host_device_scalarIfEENS7_IdEENS7_IS3_EEb.private_seg_size, 0
	.set _ZN9rocsparseL12csrilu0_hashILj256ELj32ELj2EdEEviPKiS2_PT2_S2_PiS2_S5_S5_d21rocsparse_index_base_imNS_24const_host_device_scalarIfEENS7_IdEENS7_IS3_EEb.uses_vcc, 1
	.set _ZN9rocsparseL12csrilu0_hashILj256ELj32ELj2EdEEviPKiS2_PT2_S2_PiS2_S5_S5_d21rocsparse_index_base_imNS_24const_host_device_scalarIfEENS7_IdEENS7_IS3_EEb.uses_flat_scratch, 0
	.set _ZN9rocsparseL12csrilu0_hashILj256ELj32ELj2EdEEviPKiS2_PT2_S2_PiS2_S5_S5_d21rocsparse_index_base_imNS_24const_host_device_scalarIfEENS7_IdEENS7_IS3_EEb.has_dyn_sized_stack, 0
	.set _ZN9rocsparseL12csrilu0_hashILj256ELj32ELj2EdEEviPKiS2_PT2_S2_PiS2_S5_S5_d21rocsparse_index_base_imNS_24const_host_device_scalarIfEENS7_IdEENS7_IS3_EEb.has_recursion, 0
	.set _ZN9rocsparseL12csrilu0_hashILj256ELj32ELj2EdEEviPKiS2_PT2_S2_PiS2_S5_S5_d21rocsparse_index_base_imNS_24const_host_device_scalarIfEENS7_IdEENS7_IS3_EEb.has_indirect_call, 0
	.section	.AMDGPU.csdata,"",@progbits
; Kernel info:
; codeLenInByte = 2680
; TotalNumSgprs: 42
; NumVgprs: 31
; ScratchSize: 0
; MemoryBound: 0
; FloatMode: 240
; IeeeMode: 1
; LDSByteSize: 4096 bytes/workgroup (compile time only)
; SGPRBlocks: 0
; VGPRBlocks: 3
; NumSGPRsForWavesPerEU: 42
; NumVGPRsForWavesPerEU: 31
; Occupancy: 16
; WaveLimiterHint : 1
; COMPUTE_PGM_RSRC2:SCRATCH_EN: 0
; COMPUTE_PGM_RSRC2:USER_SGPR: 6
; COMPUTE_PGM_RSRC2:TRAP_HANDLER: 0
; COMPUTE_PGM_RSRC2:TGID_X_EN: 1
; COMPUTE_PGM_RSRC2:TGID_Y_EN: 0
; COMPUTE_PGM_RSRC2:TGID_Z_EN: 0
; COMPUTE_PGM_RSRC2:TIDIG_COMP_CNT: 0
	.section	.text._ZN9rocsparseL12csrilu0_hashILj256ELj32ELj4EdEEviPKiS2_PT2_S2_PiS2_S5_S5_d21rocsparse_index_base_imNS_24const_host_device_scalarIfEENS7_IdEENS7_IS3_EEb,"axG",@progbits,_ZN9rocsparseL12csrilu0_hashILj256ELj32ELj4EdEEviPKiS2_PT2_S2_PiS2_S5_S5_d21rocsparse_index_base_imNS_24const_host_device_scalarIfEENS7_IdEENS7_IS3_EEb,comdat
	.globl	_ZN9rocsparseL12csrilu0_hashILj256ELj32ELj4EdEEviPKiS2_PT2_S2_PiS2_S5_S5_d21rocsparse_index_base_imNS_24const_host_device_scalarIfEENS7_IdEENS7_IS3_EEb ; -- Begin function _ZN9rocsparseL12csrilu0_hashILj256ELj32ELj4EdEEviPKiS2_PT2_S2_PiS2_S5_S5_d21rocsparse_index_base_imNS_24const_host_device_scalarIfEENS7_IdEENS7_IS3_EEb
	.p2align	8
	.type	_ZN9rocsparseL12csrilu0_hashILj256ELj32ELj4EdEEviPKiS2_PT2_S2_PiS2_S5_S5_d21rocsparse_index_base_imNS_24const_host_device_scalarIfEENS7_IdEENS7_IS3_EEb,@function
_ZN9rocsparseL12csrilu0_hashILj256ELj32ELj4EdEEviPKiS2_PT2_S2_PiS2_S5_S5_d21rocsparse_index_base_imNS_24const_host_device_scalarIfEENS7_IdEENS7_IS3_EEb: ; @_ZN9rocsparseL12csrilu0_hashILj256ELj32ELj4EdEEviPKiS2_PT2_S2_PiS2_S5_S5_d21rocsparse_index_base_imNS_24const_host_device_scalarIfEENS7_IdEENS7_IS3_EEb
; %bb.0:
	s_clause 0x2
	s_load_dword s0, s[4:5], 0x78
	s_load_dwordx2 s[2:3], s[4:5], 0x50
	s_load_dwordx8 s[24:31], s[4:5], 0x58
	s_waitcnt lgkmcnt(0)
	s_bitcmp1_b32 s0, 0
	s_cselect_b32 s0, -1, 0
	s_cmp_eq_u32 s3, 0
	s_cselect_b32 s7, -1, 0
	s_cmp_lg_u32 s3, 0
	s_cselect_b32 s3, -1, 0
	s_or_b32 s9, s7, s0
	s_xor_b32 s8, s9, -1
	s_and_b32 s0, s7, exec_lo
	s_cselect_b32 s1, 0, s29
	s_cselect_b32 s0, 0, s28
	s_and_b32 vcc_lo, exec_lo, s9
	s_cbranch_vccnz .LBB16_2
; %bb.1:
	s_load_dword s0, s[26:27], 0x0
	s_waitcnt lgkmcnt(0)
	v_mov_b32_e32 v19, s0
	s_mov_b64 s[0:1], s[28:29]
	s_branch .LBB16_3
.LBB16_2:
	v_cndmask_b32_e64 v19, s26, 0, s7
.LBB16_3:
	v_mov_b32_e32 v4, s1
	v_cndmask_b32_e64 v1, 0, 1, s8
	v_mov_b32_e32 v3, s0
	s_andn2_b32 vcc_lo, exec_lo, s8
	s_cbranch_vccnz .LBB16_5
; %bb.4:
	v_mov_b32_e32 v2, s28
	v_mov_b32_e32 v3, s29
	flat_load_dwordx2 v[3:4], v[2:3]
.LBB16_5:
	s_and_b32 s0, s7, exec_lo
	s_cselect_b32 s1, 0, s31
	v_cmp_ne_u32_e32 vcc_lo, 1, v1
	s_cselect_b32 s0, 0, s30
	v_mov_b32_e32 v6, s1
	v_mov_b32_e32 v5, s0
	s_mov_b32 s0, 0
	s_cbranch_vccnz .LBB16_7
; %bb.6:
	v_mov_b32_e32 v1, s30
	v_mov_b32_e32 v2, s31
	flat_load_dwordx2 v[5:6], v[1:2]
.LBB16_7:
	v_lshrrev_b32_e32 v1, 5, v0
	v_and_b32_e32 v18, 31, v0
	v_lshlrev_b32_e32 v7, 9, v1
	v_lshlrev_b32_e32 v8, 2, v18
	v_or_b32_e32 v2, 0xffffffe0, v18
	v_or3_b32 v7, v7, v8, 0x1000
	v_mov_b32_e32 v8, -1
.LBB16_8:                               ; =>This Inner Loop Header: Depth=1
	v_add_nc_u32_e32 v2, 32, v2
	ds_write_b32 v7, v8
	v_add_nc_u32_e32 v7, 0x80, v7
	v_cmp_lt_u32_e32 vcc_lo, 0x5f, v2
	s_or_b32 s0, vcc_lo, s0
	s_andn2_b32 exec_lo, exec_lo, s0
	s_cbranch_execnz .LBB16_8
; %bb.9:
	s_or_b32 exec_lo, exec_lo, s0
	s_load_dword s0, s[4:5], 0x0
	s_lshl_b32 s1, s6, 3
	s_waitcnt vmcnt(0) lgkmcnt(0)
	buffer_gl0_inv
	v_and_or_b32 v1, 0x7fffff8, s1, v1
	v_cmp_gt_i32_e32 vcc_lo, s0, v1
	s_and_saveexec_b32 s0, vcc_lo
	s_cbranch_execz .LBB16_81
; %bb.10:
	s_load_dwordx16 s[8:23], s[4:5], 0x8
	v_lshlrev_b32_e32 v1, 2, v1
	v_lshlrev_b32_e32 v0, 4, v0
	s_mov_b32 s0, exec_lo
	v_and_b32_e32 v0, 0xe00, v0
	v_or_b32_e32 v20, 0x1000, v0
	s_waitcnt lgkmcnt(0)
	global_load_dword v7, v1, s[18:19]
	s_waitcnt vmcnt(0)
	v_ashrrev_i32_e32 v8, 31, v7
	v_lshlrev_b64 v[1:2], 2, v[7:8]
	v_add_co_u32 v8, vcc_lo, s8, v1
	v_add_co_ci_u32_e64 v9, null, s9, v2, vcc_lo
	v_add_co_u32 v11, vcc_lo, s14, v1
	v_add_co_ci_u32_e64 v12, null, s15, v2, vcc_lo
	global_load_dwordx2 v[9:10], v[8:9], off
	global_load_dword v8, v[11:12], off
	s_waitcnt vmcnt(1)
	v_subrev_nc_u32_e32 v9, s2, v9
	v_subrev_nc_u32_e32 v12, s2, v10
	v_add_nc_u32_e32 v10, v9, v18
	v_cmpx_lt_i32_e64 v10, v12
	s_cbranch_execz .LBB16_33
; %bb.11:
	v_mov_b32_e32 v13, -1
	s_mov_b32 s1, 0
	s_branch .LBB16_13
.LBB16_12:                              ;   in Loop: Header=BB16_13 Depth=1
	s_or_b32 exec_lo, exec_lo, s6
	v_add_nc_u32_e32 v10, 32, v10
	v_cmp_ge_i32_e32 vcc_lo, v10, v12
	s_or_b32 s1, vcc_lo, s1
	s_andn2_b32 exec_lo, exec_lo, s1
	s_cbranch_execz .LBB16_33
.LBB16_13:                              ; =>This Loop Header: Depth=1
                                        ;     Child Loop BB16_22 Depth 2
	v_ashrrev_i32_e32 v11, 31, v10
	s_mov_b32 s6, 0
                                        ; implicit-def: $sgpr7
                                        ; implicit-def: $sgpr18
                                        ; implicit-def: $sgpr19
	v_lshlrev_b64 v[14:15], 2, v[10:11]
	v_add_co_u32 v14, vcc_lo, s10, v14
	v_add_co_ci_u32_e64 v15, null, s11, v15, vcc_lo
	global_load_dword v11, v[14:15], off
	v_mov_b32_e32 v14, 0x80
	s_waitcnt vmcnt(0)
	v_mul_lo_u32 v16, 0x67, v11
	s_branch .LBB16_22
.LBB16_14:                              ;   in Loop: Header=BB16_22 Depth=2
	s_or_b32 exec_lo, exec_lo, s36
	s_orn2_b32 s34, s34, exec_lo
	s_orn2_b32 s35, s35, exec_lo
.LBB16_15:                              ;   in Loop: Header=BB16_22 Depth=2
	s_or_b32 exec_lo, exec_lo, s33
	s_and_b32 s34, s34, exec_lo
	s_orn2_b32 s33, s35, exec_lo
.LBB16_16:                              ;   in Loop: Header=BB16_22 Depth=2
	s_or_b32 exec_lo, exec_lo, s31
	s_orn2_b32 s31, s34, exec_lo
	s_orn2_b32 s33, s33, exec_lo
.LBB16_17:                              ;   in Loop: Header=BB16_22 Depth=2
	s_or_b32 exec_lo, exec_lo, s30
	s_and_b32 s31, s31, exec_lo
	s_orn2_b32 s30, s33, exec_lo
.LBB16_18:                              ;   in Loop: Header=BB16_22 Depth=2
	s_or_b32 exec_lo, exec_lo, s29
	s_orn2_b32 s29, s31, exec_lo
	s_orn2_b32 s30, s30, exec_lo
.LBB16_19:                              ;   in Loop: Header=BB16_22 Depth=2
	s_or_b32 exec_lo, exec_lo, s28
	s_and_b32 s29, s29, exec_lo
	s_orn2_b32 s28, s30, exec_lo
.LBB16_20:                              ;   in Loop: Header=BB16_22 Depth=2
	s_or_b32 exec_lo, exec_lo, s27
	s_andn2_b32 s19, s19, exec_lo
	s_and_b32 s27, s29, exec_lo
	s_andn2_b32 s18, s18, exec_lo
	s_and_b32 s28, s28, exec_lo
	s_or_b32 s19, s19, s27
	s_or_b32 s18, s18, s28
.LBB16_21:                              ;   in Loop: Header=BB16_22 Depth=2
	s_or_b32 exec_lo, exec_lo, s26
	s_and_b32 s26, exec_lo, s18
	s_or_b32 s6, s26, s6
	s_andn2_b32 s7, s7, exec_lo
	s_and_b32 s26, s19, exec_lo
	s_or_b32 s7, s7, s26
	s_andn2_b32 exec_lo, exec_lo, s6
	s_cbranch_execz .LBB16_31
.LBB16_22:                              ;   Parent Loop BB16_13 Depth=1
                                        ; =>  This Inner Loop Header: Depth=2
	v_and_b32_e32 v15, 0x7f, v16
	s_or_b32 s19, s19, exec_lo
	s_or_b32 s18, s18, exec_lo
	s_mov_b32 s26, exec_lo
	v_lshl_add_u32 v17, v15, 2, v20
	ds_read_b32 v21, v17
	s_waitcnt lgkmcnt(0)
	v_cmpx_ne_u32_e64 v21, v11
	s_cbranch_execz .LBB16_21
; %bb.23:                               ;   in Loop: Header=BB16_22 Depth=2
	ds_cmpst_rtn_b32 v17, v17, v13, v11
	s_mov_b32 s28, -1
	s_mov_b32 s29, 0
	s_mov_b32 s27, exec_lo
	s_waitcnt lgkmcnt(0)
	v_cmpx_ne_u32_e32 -1, v17
	s_cbranch_execz .LBB16_20
; %bb.24:                               ;   in Loop: Header=BB16_22 Depth=2
	v_add_nc_u32_e32 v15, 1, v16
	s_mov_b32 s30, -1
	s_mov_b32 s29, -1
	s_mov_b32 s28, exec_lo
	v_and_b32_e32 v15, 0x7f, v15
	v_lshl_add_u32 v17, v15, 2, v20
	ds_read_b32 v21, v17
	s_waitcnt lgkmcnt(0)
	v_cmpx_ne_u32_e64 v21, v11
	s_cbranch_execz .LBB16_19
; %bb.25:                               ;   in Loop: Header=BB16_22 Depth=2
	ds_cmpst_rtn_b32 v17, v17, v13, v11
	s_mov_b32 s31, 0
	s_mov_b32 s29, exec_lo
	s_waitcnt lgkmcnt(0)
	v_cmpx_ne_u32_e32 -1, v17
	s_cbranch_execz .LBB16_18
; %bb.26:                               ;   in Loop: Header=BB16_22 Depth=2
	v_add_nc_u32_e32 v15, 2, v16
	s_mov_b32 s33, -1
	s_mov_b32 s31, -1
	s_mov_b32 s30, exec_lo
	v_and_b32_e32 v15, 0x7f, v15
	v_lshl_add_u32 v17, v15, 2, v20
	ds_read_b32 v21, v17
	s_waitcnt lgkmcnt(0)
	v_cmpx_ne_u32_e64 v21, v11
	s_cbranch_execz .LBB16_17
; %bb.27:                               ;   in Loop: Header=BB16_22 Depth=2
	ds_cmpst_rtn_b32 v17, v17, v13, v11
	s_mov_b32 s34, 0
	s_mov_b32 s31, exec_lo
	s_waitcnt lgkmcnt(0)
	v_cmpx_ne_u32_e32 -1, v17
	s_cbranch_execz .LBB16_16
; %bb.28:                               ;   in Loop: Header=BB16_22 Depth=2
	v_add_nc_u32_e32 v15, 3, v16
	s_mov_b32 s35, -1
	s_mov_b32 s34, -1
	v_and_b32_e32 v15, 0x7f, v15
	v_lshl_add_u32 v17, v15, 2, v20
	ds_read_b32 v16, v17
	s_waitcnt lgkmcnt(0)
	v_cmp_ne_u32_e32 vcc_lo, v16, v11
                                        ; implicit-def: $vgpr16
	s_and_saveexec_b32 s33, vcc_lo
	s_cbranch_execz .LBB16_15
; %bb.29:                               ;   in Loop: Header=BB16_22 Depth=2
	ds_cmpst_rtn_b32 v16, v17, v13, v11
	s_mov_b32 s34, 0
	s_waitcnt lgkmcnt(0)
	v_cmp_ne_u32_e32 vcc_lo, -1, v16
                                        ; implicit-def: $vgpr16
	s_and_saveexec_b32 s36, vcc_lo
	s_cbranch_execz .LBB16_14
; %bb.30:                               ;   in Loop: Header=BB16_22 Depth=2
	v_add_nc_u32_e32 v14, -4, v14
	v_add_nc_u32_e32 v16, 1, v15
	s_mov_b32 s34, exec_lo
	v_cmp_eq_u32_e32 vcc_lo, 0, v14
	s_orn2_b32 s35, vcc_lo, exec_lo
	s_branch .LBB16_14
.LBB16_31:                              ;   in Loop: Header=BB16_13 Depth=1
	s_or_b32 exec_lo, exec_lo, s6
	s_xor_b32 s6, s7, -1
	s_and_saveexec_b32 s7, s6
	s_xor_b32 s6, exec_lo, s7
	s_cbranch_execz .LBB16_12
; %bb.32:                               ;   in Loop: Header=BB16_13 Depth=1
	v_lshl_add_u32 v11, v15, 2, v0
	ds_write_b32 v11, v10
	s_branch .LBB16_12
.LBB16_33:
	s_or_b32 exec_lo, exec_lo, s0
	s_mov_b32 s0, exec_lo
	s_waitcnt vmcnt(0) lgkmcnt(0)
	buffer_gl0_inv
	v_cmpx_lt_i32_e64 v9, v8
	s_cbranch_execz .LBB16_63
; %bb.34:
	v_add_nc_u32_e32 v21, 1, v18
	s_mov_b32 s1, 0
	s_branch .LBB16_37
.LBB16_35:                              ;   in Loop: Header=BB16_37 Depth=1
	s_or_b32 exec_lo, exec_lo, s7
	v_add_nc_u32_e32 v9, 1, v9
	v_cmp_ge_i32_e32 vcc_lo, v9, v8
	s_orn2_b32 s7, vcc_lo, exec_lo
.LBB16_36:                              ;   in Loop: Header=BB16_37 Depth=1
	s_or_b32 exec_lo, exec_lo, s6
	s_and_b32 s6, exec_lo, s7
	s_or_b32 s1, s6, s1
	s_andn2_b32 exec_lo, exec_lo, s1
	s_cbranch_execz .LBB16_63
.LBB16_37:                              ; =>This Loop Header: Depth=1
                                        ;     Child Loop BB16_38 Depth 2
                                        ;     Child Loop BB16_43 Depth 2
                                        ;       Child Loop BB16_52 Depth 3
	v_ashrrev_i32_e32 v10, 31, v9
	s_mov_b32 s6, 0
	v_lshlrev_b64 v[11:12], 2, v[9:10]
	v_lshlrev_b64 v[13:14], 3, v[9:10]
	v_add_co_u32 v11, vcc_lo, s10, v11
	v_add_co_ci_u32_e64 v12, null, s11, v12, vcc_lo
	v_add_co_u32 v13, vcc_lo, s12, v13
	v_add_co_ci_u32_e64 v14, null, s13, v14, vcc_lo
	global_load_dword v11, v[11:12], off
	s_waitcnt vmcnt(0)
	v_subrev_nc_u32_e32 v11, s2, v11
	v_ashrrev_i32_e32 v12, 31, v11
	v_lshlrev_b64 v[15:16], 2, v[11:12]
	v_add_co_u32 v22, vcc_lo, s8, v15
	v_add_co_ci_u32_e64 v23, null, s9, v16, vcc_lo
	v_add_co_u32 v24, vcc_lo, s14, v15
	v_add_co_ci_u32_e64 v25, null, s15, v16, vcc_lo
	global_load_dwordx2 v[10:11], v[13:14], off
	global_load_dword v12, v[22:23], off offset:4
	global_load_dword v17, v[24:25], off
	v_add_co_u32 v15, vcc_lo, s16, v15
	v_add_co_ci_u32_e64 v16, null, s17, v16, vcc_lo
.LBB16_38:                              ;   Parent Loop BB16_37 Depth=1
                                        ; =>  This Inner Loop Header: Depth=2
	global_load_dword v22, v[15:16], off glc dlc
	s_waitcnt vmcnt(0)
	v_cmp_ne_u32_e32 vcc_lo, 0, v22
	s_or_b32 s6, vcc_lo, s6
	s_andn2_b32 exec_lo, exec_lo, s6
	s_cbranch_execnz .LBB16_38
; %bb.39:                               ;   in Loop: Header=BB16_37 Depth=1
	s_or_b32 exec_lo, exec_lo, s6
	v_subrev_nc_u32_e32 v22, s2, v12
	v_cmp_eq_u32_e32 vcc_lo, -1, v17
	buffer_gl1_inv
	buffer_gl0_inv
	s_mov_b32 s7, -1
	s_mov_b32 s6, exec_lo
	v_add_nc_u32_e32 v12, -1, v22
	v_cndmask_b32_e32 v15, v17, v12, vcc_lo
	v_ashrrev_i32_e32 v16, 31, v15
	v_lshlrev_b64 v[16:17], 3, v[15:16]
	v_add_co_u32 v16, vcc_lo, s12, v16
	v_add_co_ci_u32_e64 v17, null, s13, v17, vcc_lo
	global_load_dwordx2 v[16:17], v[16:17], off
	s_waitcnt vmcnt(0)
	v_cmpx_neq_f64_e32 0, v[16:17]
	s_cbranch_execz .LBB16_36
; %bb.40:                               ;   in Loop: Header=BB16_37 Depth=1
	v_div_scale_f64 v[23:24], null, v[16:17], v[16:17], v[10:11]
	v_add_nc_u32_e32 v12, v21, v15
	s_mov_b32 s7, exec_lo
	v_rcp_f64_e32 v[25:26], v[23:24]
	v_fma_f64 v[27:28], -v[23:24], v[25:26], 1.0
	v_fma_f64 v[25:26], v[25:26], v[27:28], v[25:26]
	v_fma_f64 v[27:28], -v[23:24], v[25:26], 1.0
	v_fma_f64 v[25:26], v[25:26], v[27:28], v[25:26]
	v_div_scale_f64 v[27:28], vcc_lo, v[10:11], v[16:17], v[10:11]
	v_mul_f64 v[29:30], v[27:28], v[25:26]
	v_fma_f64 v[23:24], -v[23:24], v[29:30], v[27:28]
	v_div_fmas_f64 v[23:24], v[23:24], v[25:26], v[29:30]
	v_div_fixup_f64 v[10:11], v[23:24], v[16:17], v[10:11]
	global_store_dwordx2 v[13:14], v[10:11], off
	v_cmpx_lt_i32_e64 v12, v22
	s_cbranch_execz .LBB16_35
; %bb.41:                               ;   in Loop: Header=BB16_37 Depth=1
	s_mov_b32 s18, 0
	s_branch .LBB16_43
.LBB16_42:                              ;   in Loop: Header=BB16_43 Depth=2
	s_or_b32 exec_lo, exec_lo, s19
	v_add_nc_u32_e32 v12, 32, v12
	v_cmp_ge_i32_e32 vcc_lo, v12, v22
	s_or_b32 s18, vcc_lo, s18
	s_andn2_b32 exec_lo, exec_lo, s18
	s_cbranch_execz .LBB16_35
.LBB16_43:                              ;   Parent Loop BB16_37 Depth=1
                                        ; =>  This Loop Header: Depth=2
                                        ;       Child Loop BB16_52 Depth 3
	v_ashrrev_i32_e32 v13, 31, v12
	s_mov_b32 s19, 0
                                        ; implicit-def: $sgpr26
                                        ; implicit-def: $sgpr27
                                        ; implicit-def: $sgpr28
	v_lshlrev_b64 v[14:15], 2, v[12:13]
	v_add_co_u32 v14, vcc_lo, s10, v14
	v_add_co_ci_u32_e64 v15, null, s11, v15, vcc_lo
	global_load_dword v14, v[14:15], off
	v_mov_b32_e32 v15, 0x80
	s_waitcnt vmcnt(0)
	v_mul_lo_u32 v17, 0x67, v14
	s_branch .LBB16_52
.LBB16_44:                              ;   in Loop: Header=BB16_52 Depth=3
	s_or_b32 exec_lo, exec_lo, s39
	s_orn2_b32 s37, s37, exec_lo
	s_orn2_b32 s38, s38, exec_lo
.LBB16_45:                              ;   in Loop: Header=BB16_52 Depth=3
	s_or_b32 exec_lo, exec_lo, s36
	s_and_b32 s37, s37, exec_lo
	s_orn2_b32 s36, s38, exec_lo
.LBB16_46:                              ;   in Loop: Header=BB16_52 Depth=3
	s_or_b32 exec_lo, exec_lo, s35
	s_orn2_b32 s35, s37, exec_lo
	s_orn2_b32 s36, s36, exec_lo
.LBB16_47:                              ;   in Loop: Header=BB16_52 Depth=3
	s_or_b32 exec_lo, exec_lo, s34
	s_and_b32 s35, s35, exec_lo
	s_orn2_b32 s34, s36, exec_lo
.LBB16_48:                              ;   in Loop: Header=BB16_52 Depth=3
	s_or_b32 exec_lo, exec_lo, s33
	s_orn2_b32 s33, s35, exec_lo
	s_orn2_b32 s34, s34, exec_lo
.LBB16_49:                              ;   in Loop: Header=BB16_52 Depth=3
	s_or_b32 exec_lo, exec_lo, s31
	s_and_b32 s33, s33, exec_lo
	s_orn2_b32 s31, s34, exec_lo
.LBB16_50:                              ;   in Loop: Header=BB16_52 Depth=3
	s_or_b32 exec_lo, exec_lo, s30
	s_andn2_b32 s28, s28, exec_lo
	s_and_b32 s30, s33, exec_lo
	s_andn2_b32 s27, s27, exec_lo
	s_and_b32 s31, s31, exec_lo
	s_or_b32 s28, s28, s30
	s_or_b32 s27, s27, s31
.LBB16_51:                              ;   in Loop: Header=BB16_52 Depth=3
	s_or_b32 exec_lo, exec_lo, s29
	s_and_b32 s29, exec_lo, s27
	s_or_b32 s19, s29, s19
	s_andn2_b32 s26, s26, exec_lo
	s_and_b32 s29, s28, exec_lo
	s_or_b32 s26, s26, s29
	s_andn2_b32 exec_lo, exec_lo, s19
	s_cbranch_execz .LBB16_61
.LBB16_52:                              ;   Parent Loop BB16_37 Depth=1
                                        ;     Parent Loop BB16_43 Depth=2
                                        ; =>    This Inner Loop Header: Depth=3
	v_and_b32_e32 v16, 0x7f, v17
	s_or_b32 s28, s28, exec_lo
	s_or_b32 s27, s27, exec_lo
	s_mov_b32 s29, exec_lo
	v_lshl_add_u32 v23, v16, 2, v20
	ds_read_b32 v23, v23
	s_waitcnt lgkmcnt(0)
	v_cmpx_ne_u32_e32 -1, v23
	s_cbranch_execz .LBB16_51
; %bb.53:                               ;   in Loop: Header=BB16_52 Depth=3
	s_mov_b32 s31, -1
	s_mov_b32 s33, 0
	s_mov_b32 s30, exec_lo
	v_cmpx_ne_u32_e64 v23, v14
	s_cbranch_execz .LBB16_50
; %bb.54:                               ;   in Loop: Header=BB16_52 Depth=3
	v_add_nc_u32_e32 v16, 1, v17
	s_mov_b32 s34, -1
	s_mov_b32 s33, -1
	s_mov_b32 s31, exec_lo
	v_and_b32_e32 v16, 0x7f, v16
	v_lshl_add_u32 v23, v16, 2, v20
	ds_read_b32 v23, v23
	s_waitcnt lgkmcnt(0)
	v_cmpx_ne_u32_e32 -1, v23
	s_cbranch_execz .LBB16_49
; %bb.55:                               ;   in Loop: Header=BB16_52 Depth=3
	s_mov_b32 s35, 0
	s_mov_b32 s33, exec_lo
	v_cmpx_ne_u32_e64 v23, v14
	s_cbranch_execz .LBB16_48
; %bb.56:                               ;   in Loop: Header=BB16_52 Depth=3
	v_add_nc_u32_e32 v16, 2, v17
	s_mov_b32 s36, -1
	s_mov_b32 s35, -1
	s_mov_b32 s34, exec_lo
	v_and_b32_e32 v16, 0x7f, v16
	v_lshl_add_u32 v23, v16, 2, v20
	ds_read_b32 v23, v23
	s_waitcnt lgkmcnt(0)
	v_cmpx_ne_u32_e32 -1, v23
	s_cbranch_execz .LBB16_47
; %bb.57:                               ;   in Loop: Header=BB16_52 Depth=3
	s_mov_b32 s37, 0
	s_mov_b32 s35, exec_lo
	v_cmpx_ne_u32_e64 v23, v14
	s_cbranch_execz .LBB16_46
; %bb.58:                               ;   in Loop: Header=BB16_52 Depth=3
	v_add_nc_u32_e32 v16, 3, v17
	s_mov_b32 s38, -1
	s_mov_b32 s37, -1
	s_mov_b32 s36, exec_lo
	v_and_b32_e32 v16, 0x7f, v16
	v_lshl_add_u32 v17, v16, 2, v20
	ds_read_b32 v23, v17
                                        ; implicit-def: $vgpr17
	s_waitcnt lgkmcnt(0)
	v_cmpx_ne_u32_e32 -1, v23
	s_cbranch_execz .LBB16_45
; %bb.59:                               ;   in Loop: Header=BB16_52 Depth=3
	s_mov_b32 s37, 0
	s_mov_b32 s39, exec_lo
                                        ; implicit-def: $vgpr17
	v_cmpx_ne_u32_e64 v23, v14
	s_cbranch_execz .LBB16_44
; %bb.60:                               ;   in Loop: Header=BB16_52 Depth=3
	v_add_nc_u32_e32 v15, -4, v15
	v_add_nc_u32_e32 v17, 1, v16
	s_mov_b32 s37, exec_lo
	v_cmp_eq_u32_e32 vcc_lo, 0, v15
	s_orn2_b32 s38, vcc_lo, exec_lo
	s_branch .LBB16_44
.LBB16_61:                              ;   in Loop: Header=BB16_43 Depth=2
	s_or_b32 exec_lo, exec_lo, s19
	s_xor_b32 s19, s26, -1
	s_and_saveexec_b32 s26, s19
	s_xor_b32 s19, exec_lo, s26
	s_cbranch_execz .LBB16_42
; %bb.62:                               ;   in Loop: Header=BB16_43 Depth=2
	v_lshl_add_u32 v14, v16, 2, v0
	v_lshlrev_b64 v[16:17], 3, v[12:13]
	ds_read_b32 v14, v14
	s_waitcnt lgkmcnt(0)
	v_ashrrev_i32_e32 v15, 31, v14
	v_lshlrev_b64 v[13:14], 3, v[14:15]
	v_add_co_u32 v15, vcc_lo, s12, v16
	v_add_co_ci_u32_e64 v16, null, s13, v17, vcc_lo
	v_add_co_u32 v13, vcc_lo, s12, v13
	v_add_co_ci_u32_e64 v14, null, s13, v14, vcc_lo
	s_clause 0x1
	global_load_dwordx2 v[15:16], v[15:16], off
	global_load_dwordx2 v[23:24], v[13:14], off
	s_waitcnt vmcnt(0)
	v_fma_f64 v[15:16], -v[10:11], v[15:16], v[23:24]
	global_store_dwordx2 v[13:14], v[15:16], off
	s_branch .LBB16_42
.LBB16_63:
	s_or_b32 exec_lo, exec_lo, s0
	s_mov_b32 s6, -1
	s_mov_b32 s1, exec_lo
	s_waitcnt_vscnt null, 0x0
	buffer_gl0_inv
	v_cmpx_lt_i32_e32 -1, v8
	s_cbranch_execz .LBB16_79
; %bb.64:
	v_mov_b32_e32 v9, 0
	v_cmp_eq_u32_e64 s0, 0, v18
	v_lshlrev_b64 v[8:9], 3, v[8:9]
	v_add_co_u32 v12, vcc_lo, s12, v8
	v_add_co_ci_u32_e64 v13, null, s13, v9, vcc_lo
	global_load_dwordx2 v[8:9], v[12:13], off
	s_waitcnt vmcnt(0)
	v_cmp_gt_f64_e32 vcc_lo, 0, v[8:9]
	v_xor_b32_e32 v0, 0x80000000, v9
	v_mov_b32_e32 v10, v8
	v_cndmask_b32_e32 v11, v9, v0, vcc_lo
	s_andn2_b32 vcc_lo, exec_lo, s3
	s_cbranch_vccnz .LBB16_68
; %bb.65:
	v_cvt_f64_f32_e32 v[14:15], v19
	s_cmp_eq_u64 s[24:25], 8
	s_cselect_b32 vcc_lo, -1, 0
	v_cndmask_b32_e32 v4, v15, v4, vcc_lo
	v_cndmask_b32_e32 v3, v14, v3, vcc_lo
	v_cmp_le_f64_e32 vcc_lo, v[10:11], v[3:4]
	s_and_b32 s6, s0, vcc_lo
	s_and_saveexec_b32 s3, s6
	s_cbranch_execz .LBB16_67
; %bb.66:
	global_store_dwordx2 v[12:13], v[5:6], off
	s_waitcnt_vscnt null, 0x0
	buffer_gl1_inv
	buffer_gl0_inv
.LBB16_67:
	s_or_b32 exec_lo, exec_lo, s3
	s_mov_b32 s6, 0
.LBB16_68:
	s_andn2_b32 vcc_lo, exec_lo, s6
	s_cbranch_vccnz .LBB16_79
; %bb.69:
	s_load_dwordx2 s[4:5], s[4:5], 0x48
	v_add_nc_u32_e32 v0, s2, v7
	s_waitcnt lgkmcnt(0)
	v_cmp_ge_f64_e32 vcc_lo, s[4:5], v[10:11]
	s_and_b32 s3, s0, vcc_lo
	s_and_saveexec_b32 s2, s3
	s_cbranch_execz .LBB16_74
; %bb.70:
	s_mov_b32 s4, exec_lo
	s_brev_b32 s3, -2
.LBB16_71:                              ; =>This Inner Loop Header: Depth=1
	s_ff1_i32_b32 s5, s4
	v_readlane_b32 s6, v0, s5
	s_lshl_b32 s5, 1, s5
	s_andn2_b32 s4, s4, s5
	s_min_i32 s3, s3, s6
	s_cmp_lg_u32 s4, 0
	s_cbranch_scc1 .LBB16_71
; %bb.72:
	v_mbcnt_lo_u32_b32 v3, exec_lo, 0
	s_mov_b32 s4, exec_lo
	v_cmpx_eq_u32_e32 0, v3
	s_xor_b32 s4, exec_lo, s4
	s_cbranch_execz .LBB16_74
; %bb.73:
	v_mov_b32_e32 v3, 0
	v_mov_b32_e32 v4, s3
	global_atomic_smin v3, v4, s[22:23]
.LBB16_74:
	s_or_b32 exec_lo, exec_lo, s2
	v_cmp_eq_f64_e32 vcc_lo, 0, v[8:9]
	s_and_b32 s0, s0, vcc_lo
	s_and_b32 exec_lo, exec_lo, s0
	s_cbranch_execz .LBB16_79
; %bb.75:
	s_mov_b32 s2, exec_lo
	s_brev_b32 s0, -2
.LBB16_76:                              ; =>This Inner Loop Header: Depth=1
	s_ff1_i32_b32 s3, s2
	v_readlane_b32 s4, v0, s3
	s_lshl_b32 s3, 1, s3
	s_andn2_b32 s2, s2, s3
	s_min_i32 s0, s0, s4
	s_cmp_lg_u32 s2, 0
	s_cbranch_scc1 .LBB16_76
; %bb.77:
	v_mbcnt_lo_u32_b32 v0, exec_lo, 0
	s_mov_b32 s2, exec_lo
	v_cmpx_eq_u32_e32 0, v0
	s_xor_b32 s2, exec_lo, s2
	s_cbranch_execz .LBB16_79
; %bb.78:
	v_mov_b32_e32 v0, 0
	v_mov_b32_e32 v3, s0
	global_atomic_smin v0, v3, s[20:21]
.LBB16_79:
	s_or_b32 exec_lo, exec_lo, s1
	v_cmp_eq_u32_e32 vcc_lo, 0, v18
	s_waitcnt_vscnt null, 0x0
	buffer_gl1_inv
	buffer_gl0_inv
	s_and_b32 exec_lo, exec_lo, vcc_lo
	s_cbranch_execz .LBB16_81
; %bb.80:
	v_add_co_u32 v0, vcc_lo, s16, v1
	v_add_co_ci_u32_e64 v1, null, s17, v2, vcc_lo
	v_mov_b32_e32 v2, 1
	global_store_dword v[0:1], v2, off
.LBB16_81:
	s_endpgm
	.section	.rodata,"a",@progbits
	.p2align	6, 0x0
	.amdhsa_kernel _ZN9rocsparseL12csrilu0_hashILj256ELj32ELj4EdEEviPKiS2_PT2_S2_PiS2_S5_S5_d21rocsparse_index_base_imNS_24const_host_device_scalarIfEENS7_IdEENS7_IS3_EEb
		.amdhsa_group_segment_fixed_size 8192
		.amdhsa_private_segment_fixed_size 0
		.amdhsa_kernarg_size 124
		.amdhsa_user_sgpr_count 6
		.amdhsa_user_sgpr_private_segment_buffer 1
		.amdhsa_user_sgpr_dispatch_ptr 0
		.amdhsa_user_sgpr_queue_ptr 0
		.amdhsa_user_sgpr_kernarg_segment_ptr 1
		.amdhsa_user_sgpr_dispatch_id 0
		.amdhsa_user_sgpr_flat_scratch_init 0
		.amdhsa_user_sgpr_private_segment_size 0
		.amdhsa_wavefront_size32 1
		.amdhsa_uses_dynamic_stack 0
		.amdhsa_system_sgpr_private_segment_wavefront_offset 0
		.amdhsa_system_sgpr_workgroup_id_x 1
		.amdhsa_system_sgpr_workgroup_id_y 0
		.amdhsa_system_sgpr_workgroup_id_z 0
		.amdhsa_system_sgpr_workgroup_info 0
		.amdhsa_system_vgpr_workitem_id 0
		.amdhsa_next_free_vgpr 31
		.amdhsa_next_free_sgpr 40
		.amdhsa_reserve_vcc 1
		.amdhsa_reserve_flat_scratch 0
		.amdhsa_float_round_mode_32 0
		.amdhsa_float_round_mode_16_64 0
		.amdhsa_float_denorm_mode_32 3
		.amdhsa_float_denorm_mode_16_64 3
		.amdhsa_dx10_clamp 1
		.amdhsa_ieee_mode 1
		.amdhsa_fp16_overflow 0
		.amdhsa_workgroup_processor_mode 1
		.amdhsa_memory_ordered 1
		.amdhsa_forward_progress 1
		.amdhsa_shared_vgpr_count 0
		.amdhsa_exception_fp_ieee_invalid_op 0
		.amdhsa_exception_fp_denorm_src 0
		.amdhsa_exception_fp_ieee_div_zero 0
		.amdhsa_exception_fp_ieee_overflow 0
		.amdhsa_exception_fp_ieee_underflow 0
		.amdhsa_exception_fp_ieee_inexact 0
		.amdhsa_exception_int_div_zero 0
	.end_amdhsa_kernel
	.section	.text._ZN9rocsparseL12csrilu0_hashILj256ELj32ELj4EdEEviPKiS2_PT2_S2_PiS2_S5_S5_d21rocsparse_index_base_imNS_24const_host_device_scalarIfEENS7_IdEENS7_IS3_EEb,"axG",@progbits,_ZN9rocsparseL12csrilu0_hashILj256ELj32ELj4EdEEviPKiS2_PT2_S2_PiS2_S5_S5_d21rocsparse_index_base_imNS_24const_host_device_scalarIfEENS7_IdEENS7_IS3_EEb,comdat
.Lfunc_end16:
	.size	_ZN9rocsparseL12csrilu0_hashILj256ELj32ELj4EdEEviPKiS2_PT2_S2_PiS2_S5_S5_d21rocsparse_index_base_imNS_24const_host_device_scalarIfEENS7_IdEENS7_IS3_EEb, .Lfunc_end16-_ZN9rocsparseL12csrilu0_hashILj256ELj32ELj4EdEEviPKiS2_PT2_S2_PiS2_S5_S5_d21rocsparse_index_base_imNS_24const_host_device_scalarIfEENS7_IdEENS7_IS3_EEb
                                        ; -- End function
	.set _ZN9rocsparseL12csrilu0_hashILj256ELj32ELj4EdEEviPKiS2_PT2_S2_PiS2_S5_S5_d21rocsparse_index_base_imNS_24const_host_device_scalarIfEENS7_IdEENS7_IS3_EEb.num_vgpr, 31
	.set _ZN9rocsparseL12csrilu0_hashILj256ELj32ELj4EdEEviPKiS2_PT2_S2_PiS2_S5_S5_d21rocsparse_index_base_imNS_24const_host_device_scalarIfEENS7_IdEENS7_IS3_EEb.num_agpr, 0
	.set _ZN9rocsparseL12csrilu0_hashILj256ELj32ELj4EdEEviPKiS2_PT2_S2_PiS2_S5_S5_d21rocsparse_index_base_imNS_24const_host_device_scalarIfEENS7_IdEENS7_IS3_EEb.numbered_sgpr, 40
	.set _ZN9rocsparseL12csrilu0_hashILj256ELj32ELj4EdEEviPKiS2_PT2_S2_PiS2_S5_S5_d21rocsparse_index_base_imNS_24const_host_device_scalarIfEENS7_IdEENS7_IS3_EEb.num_named_barrier, 0
	.set _ZN9rocsparseL12csrilu0_hashILj256ELj32ELj4EdEEviPKiS2_PT2_S2_PiS2_S5_S5_d21rocsparse_index_base_imNS_24const_host_device_scalarIfEENS7_IdEENS7_IS3_EEb.private_seg_size, 0
	.set _ZN9rocsparseL12csrilu0_hashILj256ELj32ELj4EdEEviPKiS2_PT2_S2_PiS2_S5_S5_d21rocsparse_index_base_imNS_24const_host_device_scalarIfEENS7_IdEENS7_IS3_EEb.uses_vcc, 1
	.set _ZN9rocsparseL12csrilu0_hashILj256ELj32ELj4EdEEviPKiS2_PT2_S2_PiS2_S5_S5_d21rocsparse_index_base_imNS_24const_host_device_scalarIfEENS7_IdEENS7_IS3_EEb.uses_flat_scratch, 0
	.set _ZN9rocsparseL12csrilu0_hashILj256ELj32ELj4EdEEviPKiS2_PT2_S2_PiS2_S5_S5_d21rocsparse_index_base_imNS_24const_host_device_scalarIfEENS7_IdEENS7_IS3_EEb.has_dyn_sized_stack, 0
	.set _ZN9rocsparseL12csrilu0_hashILj256ELj32ELj4EdEEviPKiS2_PT2_S2_PiS2_S5_S5_d21rocsparse_index_base_imNS_24const_host_device_scalarIfEENS7_IdEENS7_IS3_EEb.has_recursion, 0
	.set _ZN9rocsparseL12csrilu0_hashILj256ELj32ELj4EdEEviPKiS2_PT2_S2_PiS2_S5_S5_d21rocsparse_index_base_imNS_24const_host_device_scalarIfEENS7_IdEENS7_IS3_EEb.has_indirect_call, 0
	.section	.AMDGPU.csdata,"",@progbits
; Kernel info:
; codeLenInByte = 2724
; TotalNumSgprs: 42
; NumVgprs: 31
; ScratchSize: 0
; MemoryBound: 0
; FloatMode: 240
; IeeeMode: 1
; LDSByteSize: 8192 bytes/workgroup (compile time only)
; SGPRBlocks: 0
; VGPRBlocks: 3
; NumSGPRsForWavesPerEU: 42
; NumVGPRsForWavesPerEU: 31
; Occupancy: 16
; WaveLimiterHint : 1
; COMPUTE_PGM_RSRC2:SCRATCH_EN: 0
; COMPUTE_PGM_RSRC2:USER_SGPR: 6
; COMPUTE_PGM_RSRC2:TRAP_HANDLER: 0
; COMPUTE_PGM_RSRC2:TGID_X_EN: 1
; COMPUTE_PGM_RSRC2:TGID_Y_EN: 0
; COMPUTE_PGM_RSRC2:TGID_Z_EN: 0
; COMPUTE_PGM_RSRC2:TIDIG_COMP_CNT: 0
	.section	.text._ZN9rocsparseL12csrilu0_hashILj256ELj32ELj8EdEEviPKiS2_PT2_S2_PiS2_S5_S5_d21rocsparse_index_base_imNS_24const_host_device_scalarIfEENS7_IdEENS7_IS3_EEb,"axG",@progbits,_ZN9rocsparseL12csrilu0_hashILj256ELj32ELj8EdEEviPKiS2_PT2_S2_PiS2_S5_S5_d21rocsparse_index_base_imNS_24const_host_device_scalarIfEENS7_IdEENS7_IS3_EEb,comdat
	.globl	_ZN9rocsparseL12csrilu0_hashILj256ELj32ELj8EdEEviPKiS2_PT2_S2_PiS2_S5_S5_d21rocsparse_index_base_imNS_24const_host_device_scalarIfEENS7_IdEENS7_IS3_EEb ; -- Begin function _ZN9rocsparseL12csrilu0_hashILj256ELj32ELj8EdEEviPKiS2_PT2_S2_PiS2_S5_S5_d21rocsparse_index_base_imNS_24const_host_device_scalarIfEENS7_IdEENS7_IS3_EEb
	.p2align	8
	.type	_ZN9rocsparseL12csrilu0_hashILj256ELj32ELj8EdEEviPKiS2_PT2_S2_PiS2_S5_S5_d21rocsparse_index_base_imNS_24const_host_device_scalarIfEENS7_IdEENS7_IS3_EEb,@function
_ZN9rocsparseL12csrilu0_hashILj256ELj32ELj8EdEEviPKiS2_PT2_S2_PiS2_S5_S5_d21rocsparse_index_base_imNS_24const_host_device_scalarIfEENS7_IdEENS7_IS3_EEb: ; @_ZN9rocsparseL12csrilu0_hashILj256ELj32ELj8EdEEviPKiS2_PT2_S2_PiS2_S5_S5_d21rocsparse_index_base_imNS_24const_host_device_scalarIfEENS7_IdEENS7_IS3_EEb
; %bb.0:
	s_clause 0x2
	s_load_dword s0, s[4:5], 0x78
	s_load_dwordx2 s[2:3], s[4:5], 0x50
	s_load_dwordx8 s[24:31], s[4:5], 0x58
	s_waitcnt lgkmcnt(0)
	s_bitcmp1_b32 s0, 0
	s_cselect_b32 s0, -1, 0
	s_cmp_eq_u32 s3, 0
	s_cselect_b32 s7, -1, 0
	s_cmp_lg_u32 s3, 0
	s_cselect_b32 s3, -1, 0
	s_or_b32 s9, s7, s0
	s_xor_b32 s8, s9, -1
	s_and_b32 s0, s7, exec_lo
	s_cselect_b32 s1, 0, s29
	s_cselect_b32 s0, 0, s28
	s_and_b32 vcc_lo, exec_lo, s9
	s_cbranch_vccnz .LBB17_2
; %bb.1:
	s_load_dword s0, s[26:27], 0x0
	s_waitcnt lgkmcnt(0)
	v_mov_b32_e32 v19, s0
	s_mov_b64 s[0:1], s[28:29]
	s_branch .LBB17_3
.LBB17_2:
	v_cndmask_b32_e64 v19, s26, 0, s7
.LBB17_3:
	v_mov_b32_e32 v4, s1
	v_cndmask_b32_e64 v1, 0, 1, s8
	v_mov_b32_e32 v3, s0
	s_andn2_b32 vcc_lo, exec_lo, s8
	s_cbranch_vccnz .LBB17_5
; %bb.4:
	v_mov_b32_e32 v2, s28
	v_mov_b32_e32 v3, s29
	flat_load_dwordx2 v[3:4], v[2:3]
.LBB17_5:
	s_and_b32 s0, s7, exec_lo
	s_cselect_b32 s1, 0, s31
	v_cmp_ne_u32_e32 vcc_lo, 1, v1
	s_cselect_b32 s0, 0, s30
	v_mov_b32_e32 v6, s1
	v_mov_b32_e32 v5, s0
	s_mov_b32 s0, 0
	s_cbranch_vccnz .LBB17_7
; %bb.6:
	v_mov_b32_e32 v1, s30
	v_mov_b32_e32 v2, s31
	flat_load_dwordx2 v[5:6], v[1:2]
.LBB17_7:
	v_lshrrev_b32_e32 v1, 5, v0
	v_and_b32_e32 v18, 31, v0
	v_lshlrev_b32_e32 v7, 10, v1
	v_lshlrev_b32_e32 v8, 2, v18
	v_or_b32_e32 v2, 0xffffffe0, v18
	v_or3_b32 v7, v7, v8, 0x2000
	v_mov_b32_e32 v8, -1
.LBB17_8:                               ; =>This Inner Loop Header: Depth=1
	v_add_nc_u32_e32 v2, 32, v2
	ds_write_b32 v7, v8
	v_add_nc_u32_e32 v7, 0x80, v7
	v_cmp_lt_u32_e32 vcc_lo, 0xdf, v2
	s_or_b32 s0, vcc_lo, s0
	s_andn2_b32 exec_lo, exec_lo, s0
	s_cbranch_execnz .LBB17_8
; %bb.9:
	s_or_b32 exec_lo, exec_lo, s0
	s_load_dword s0, s[4:5], 0x0
	s_lshl_b32 s1, s6, 3
	s_waitcnt vmcnt(0) lgkmcnt(0)
	buffer_gl0_inv
	v_and_or_b32 v1, 0x7fffff8, s1, v1
	v_cmp_gt_i32_e32 vcc_lo, s0, v1
	s_and_saveexec_b32 s0, vcc_lo
	s_cbranch_execz .LBB17_81
; %bb.10:
	s_load_dwordx16 s[8:23], s[4:5], 0x8
	v_lshlrev_b32_e32 v1, 2, v1
	v_lshlrev_b32_e32 v0, 5, v0
	s_mov_b32 s0, exec_lo
	v_and_b32_e32 v0, 0x1c00, v0
	v_or_b32_e32 v20, 0x2000, v0
	s_waitcnt lgkmcnt(0)
	global_load_dword v7, v1, s[18:19]
	s_waitcnt vmcnt(0)
	v_ashrrev_i32_e32 v8, 31, v7
	v_lshlrev_b64 v[1:2], 2, v[7:8]
	v_add_co_u32 v8, vcc_lo, s8, v1
	v_add_co_ci_u32_e64 v9, null, s9, v2, vcc_lo
	v_add_co_u32 v11, vcc_lo, s14, v1
	v_add_co_ci_u32_e64 v12, null, s15, v2, vcc_lo
	global_load_dwordx2 v[9:10], v[8:9], off
	global_load_dword v8, v[11:12], off
	s_waitcnt vmcnt(1)
	v_subrev_nc_u32_e32 v9, s2, v9
	v_subrev_nc_u32_e32 v12, s2, v10
	v_add_nc_u32_e32 v10, v9, v18
	v_cmpx_lt_i32_e64 v10, v12
	s_cbranch_execz .LBB17_33
; %bb.11:
	v_mov_b32_e32 v13, -1
	s_mov_b32 s1, 0
	s_branch .LBB17_13
.LBB17_12:                              ;   in Loop: Header=BB17_13 Depth=1
	s_or_b32 exec_lo, exec_lo, s6
	v_add_nc_u32_e32 v10, 32, v10
	v_cmp_ge_i32_e32 vcc_lo, v10, v12
	s_or_b32 s1, vcc_lo, s1
	s_andn2_b32 exec_lo, exec_lo, s1
	s_cbranch_execz .LBB17_33
.LBB17_13:                              ; =>This Loop Header: Depth=1
                                        ;     Child Loop BB17_22 Depth 2
	v_ashrrev_i32_e32 v11, 31, v10
	s_mov_b32 s6, 0
                                        ; implicit-def: $sgpr7
                                        ; implicit-def: $sgpr18
                                        ; implicit-def: $sgpr19
	v_lshlrev_b64 v[14:15], 2, v[10:11]
	v_add_co_u32 v14, vcc_lo, s10, v14
	v_add_co_ci_u32_e64 v15, null, s11, v15, vcc_lo
	global_load_dword v11, v[14:15], off
	v_mov_b32_e32 v14, 0x100
	s_waitcnt vmcnt(0)
	v_mul_lo_u32 v16, 0x67, v11
	s_branch .LBB17_22
.LBB17_14:                              ;   in Loop: Header=BB17_22 Depth=2
	s_or_b32 exec_lo, exec_lo, s36
	s_orn2_b32 s34, s34, exec_lo
	s_orn2_b32 s35, s35, exec_lo
.LBB17_15:                              ;   in Loop: Header=BB17_22 Depth=2
	s_or_b32 exec_lo, exec_lo, s33
	s_and_b32 s34, s34, exec_lo
	s_orn2_b32 s33, s35, exec_lo
.LBB17_16:                              ;   in Loop: Header=BB17_22 Depth=2
	s_or_b32 exec_lo, exec_lo, s31
	s_orn2_b32 s31, s34, exec_lo
	s_orn2_b32 s33, s33, exec_lo
.LBB17_17:                              ;   in Loop: Header=BB17_22 Depth=2
	s_or_b32 exec_lo, exec_lo, s30
	s_and_b32 s31, s31, exec_lo
	s_orn2_b32 s30, s33, exec_lo
.LBB17_18:                              ;   in Loop: Header=BB17_22 Depth=2
	s_or_b32 exec_lo, exec_lo, s29
	s_orn2_b32 s29, s31, exec_lo
	s_orn2_b32 s30, s30, exec_lo
.LBB17_19:                              ;   in Loop: Header=BB17_22 Depth=2
	s_or_b32 exec_lo, exec_lo, s28
	s_and_b32 s29, s29, exec_lo
	s_orn2_b32 s28, s30, exec_lo
.LBB17_20:                              ;   in Loop: Header=BB17_22 Depth=2
	s_or_b32 exec_lo, exec_lo, s27
	s_andn2_b32 s19, s19, exec_lo
	s_and_b32 s27, s29, exec_lo
	s_andn2_b32 s18, s18, exec_lo
	s_and_b32 s28, s28, exec_lo
	s_or_b32 s19, s19, s27
	s_or_b32 s18, s18, s28
.LBB17_21:                              ;   in Loop: Header=BB17_22 Depth=2
	s_or_b32 exec_lo, exec_lo, s26
	s_and_b32 s26, exec_lo, s18
	s_or_b32 s6, s26, s6
	s_andn2_b32 s7, s7, exec_lo
	s_and_b32 s26, s19, exec_lo
	s_or_b32 s7, s7, s26
	s_andn2_b32 exec_lo, exec_lo, s6
	s_cbranch_execz .LBB17_31
.LBB17_22:                              ;   Parent Loop BB17_13 Depth=1
                                        ; =>  This Inner Loop Header: Depth=2
	v_and_b32_e32 v15, 0xff, v16
	s_or_b32 s19, s19, exec_lo
	s_or_b32 s18, s18, exec_lo
	s_mov_b32 s26, exec_lo
	v_lshl_add_u32 v17, v15, 2, v20
	ds_read_b32 v21, v17
	s_waitcnt lgkmcnt(0)
	v_cmpx_ne_u32_e64 v21, v11
	s_cbranch_execz .LBB17_21
; %bb.23:                               ;   in Loop: Header=BB17_22 Depth=2
	ds_cmpst_rtn_b32 v17, v17, v13, v11
	s_mov_b32 s28, -1
	s_mov_b32 s29, 0
	s_mov_b32 s27, exec_lo
	s_waitcnt lgkmcnt(0)
	v_cmpx_ne_u32_e32 -1, v17
	s_cbranch_execz .LBB17_20
; %bb.24:                               ;   in Loop: Header=BB17_22 Depth=2
	v_add_nc_u32_e32 v15, 1, v16
	s_mov_b32 s30, -1
	s_mov_b32 s29, -1
	s_mov_b32 s28, exec_lo
	v_and_b32_e32 v15, 0xff, v15
	v_lshl_add_u32 v17, v15, 2, v20
	ds_read_b32 v21, v17
	s_waitcnt lgkmcnt(0)
	v_cmpx_ne_u32_e64 v21, v11
	s_cbranch_execz .LBB17_19
; %bb.25:                               ;   in Loop: Header=BB17_22 Depth=2
	ds_cmpst_rtn_b32 v17, v17, v13, v11
	s_mov_b32 s31, 0
	s_mov_b32 s29, exec_lo
	s_waitcnt lgkmcnt(0)
	v_cmpx_ne_u32_e32 -1, v17
	s_cbranch_execz .LBB17_18
; %bb.26:                               ;   in Loop: Header=BB17_22 Depth=2
	v_add_nc_u32_e32 v15, 2, v16
	s_mov_b32 s33, -1
	s_mov_b32 s31, -1
	s_mov_b32 s30, exec_lo
	v_and_b32_e32 v15, 0xff, v15
	v_lshl_add_u32 v17, v15, 2, v20
	ds_read_b32 v21, v17
	s_waitcnt lgkmcnt(0)
	v_cmpx_ne_u32_e64 v21, v11
	s_cbranch_execz .LBB17_17
; %bb.27:                               ;   in Loop: Header=BB17_22 Depth=2
	ds_cmpst_rtn_b32 v17, v17, v13, v11
	s_mov_b32 s34, 0
	s_mov_b32 s31, exec_lo
	s_waitcnt lgkmcnt(0)
	v_cmpx_ne_u32_e32 -1, v17
	s_cbranch_execz .LBB17_16
; %bb.28:                               ;   in Loop: Header=BB17_22 Depth=2
	v_add_nc_u32_e32 v15, 3, v16
	s_mov_b32 s35, -1
	s_mov_b32 s34, -1
	v_and_b32_e32 v15, 0xff, v15
	v_lshl_add_u32 v17, v15, 2, v20
	ds_read_b32 v16, v17
	s_waitcnt lgkmcnt(0)
	v_cmp_ne_u32_e32 vcc_lo, v16, v11
                                        ; implicit-def: $vgpr16
	s_and_saveexec_b32 s33, vcc_lo
	s_cbranch_execz .LBB17_15
; %bb.29:                               ;   in Loop: Header=BB17_22 Depth=2
	ds_cmpst_rtn_b32 v16, v17, v13, v11
	s_mov_b32 s34, 0
	s_waitcnt lgkmcnt(0)
	v_cmp_ne_u32_e32 vcc_lo, -1, v16
                                        ; implicit-def: $vgpr16
	s_and_saveexec_b32 s36, vcc_lo
	s_cbranch_execz .LBB17_14
; %bb.30:                               ;   in Loop: Header=BB17_22 Depth=2
	v_add_nc_u32_e32 v14, -4, v14
	v_add_nc_u32_e32 v16, 1, v15
	s_mov_b32 s34, exec_lo
	v_cmp_eq_u32_e32 vcc_lo, 0, v14
	s_orn2_b32 s35, vcc_lo, exec_lo
	s_branch .LBB17_14
.LBB17_31:                              ;   in Loop: Header=BB17_13 Depth=1
	s_or_b32 exec_lo, exec_lo, s6
	s_xor_b32 s6, s7, -1
	s_and_saveexec_b32 s7, s6
	s_xor_b32 s6, exec_lo, s7
	s_cbranch_execz .LBB17_12
; %bb.32:                               ;   in Loop: Header=BB17_13 Depth=1
	v_lshl_add_u32 v11, v15, 2, v0
	ds_write_b32 v11, v10
	s_branch .LBB17_12
.LBB17_33:
	s_or_b32 exec_lo, exec_lo, s0
	s_mov_b32 s0, exec_lo
	s_waitcnt vmcnt(0) lgkmcnt(0)
	buffer_gl0_inv
	v_cmpx_lt_i32_e64 v9, v8
	s_cbranch_execz .LBB17_63
; %bb.34:
	v_add_nc_u32_e32 v21, 1, v18
	s_mov_b32 s1, 0
	s_branch .LBB17_37
.LBB17_35:                              ;   in Loop: Header=BB17_37 Depth=1
	s_or_b32 exec_lo, exec_lo, s7
	v_add_nc_u32_e32 v9, 1, v9
	v_cmp_ge_i32_e32 vcc_lo, v9, v8
	s_orn2_b32 s7, vcc_lo, exec_lo
.LBB17_36:                              ;   in Loop: Header=BB17_37 Depth=1
	s_or_b32 exec_lo, exec_lo, s6
	s_and_b32 s6, exec_lo, s7
	s_or_b32 s1, s6, s1
	s_andn2_b32 exec_lo, exec_lo, s1
	s_cbranch_execz .LBB17_63
.LBB17_37:                              ; =>This Loop Header: Depth=1
                                        ;     Child Loop BB17_38 Depth 2
                                        ;     Child Loop BB17_43 Depth 2
                                        ;       Child Loop BB17_52 Depth 3
	v_ashrrev_i32_e32 v10, 31, v9
	s_mov_b32 s6, 0
	v_lshlrev_b64 v[11:12], 2, v[9:10]
	v_lshlrev_b64 v[13:14], 3, v[9:10]
	v_add_co_u32 v11, vcc_lo, s10, v11
	v_add_co_ci_u32_e64 v12, null, s11, v12, vcc_lo
	v_add_co_u32 v13, vcc_lo, s12, v13
	v_add_co_ci_u32_e64 v14, null, s13, v14, vcc_lo
	global_load_dword v11, v[11:12], off
	s_waitcnt vmcnt(0)
	v_subrev_nc_u32_e32 v11, s2, v11
	v_ashrrev_i32_e32 v12, 31, v11
	v_lshlrev_b64 v[15:16], 2, v[11:12]
	v_add_co_u32 v22, vcc_lo, s8, v15
	v_add_co_ci_u32_e64 v23, null, s9, v16, vcc_lo
	v_add_co_u32 v24, vcc_lo, s14, v15
	v_add_co_ci_u32_e64 v25, null, s15, v16, vcc_lo
	global_load_dwordx2 v[10:11], v[13:14], off
	global_load_dword v12, v[22:23], off offset:4
	global_load_dword v17, v[24:25], off
	v_add_co_u32 v15, vcc_lo, s16, v15
	v_add_co_ci_u32_e64 v16, null, s17, v16, vcc_lo
.LBB17_38:                              ;   Parent Loop BB17_37 Depth=1
                                        ; =>  This Inner Loop Header: Depth=2
	global_load_dword v22, v[15:16], off glc dlc
	s_waitcnt vmcnt(0)
	v_cmp_ne_u32_e32 vcc_lo, 0, v22
	s_or_b32 s6, vcc_lo, s6
	s_andn2_b32 exec_lo, exec_lo, s6
	s_cbranch_execnz .LBB17_38
; %bb.39:                               ;   in Loop: Header=BB17_37 Depth=1
	s_or_b32 exec_lo, exec_lo, s6
	v_subrev_nc_u32_e32 v22, s2, v12
	v_cmp_eq_u32_e32 vcc_lo, -1, v17
	buffer_gl1_inv
	buffer_gl0_inv
	s_mov_b32 s7, -1
	s_mov_b32 s6, exec_lo
	v_add_nc_u32_e32 v12, -1, v22
	v_cndmask_b32_e32 v15, v17, v12, vcc_lo
	v_ashrrev_i32_e32 v16, 31, v15
	v_lshlrev_b64 v[16:17], 3, v[15:16]
	v_add_co_u32 v16, vcc_lo, s12, v16
	v_add_co_ci_u32_e64 v17, null, s13, v17, vcc_lo
	global_load_dwordx2 v[16:17], v[16:17], off
	s_waitcnt vmcnt(0)
	v_cmpx_neq_f64_e32 0, v[16:17]
	s_cbranch_execz .LBB17_36
; %bb.40:                               ;   in Loop: Header=BB17_37 Depth=1
	v_div_scale_f64 v[23:24], null, v[16:17], v[16:17], v[10:11]
	v_add_nc_u32_e32 v12, v21, v15
	s_mov_b32 s7, exec_lo
	v_rcp_f64_e32 v[25:26], v[23:24]
	v_fma_f64 v[27:28], -v[23:24], v[25:26], 1.0
	v_fma_f64 v[25:26], v[25:26], v[27:28], v[25:26]
	v_fma_f64 v[27:28], -v[23:24], v[25:26], 1.0
	v_fma_f64 v[25:26], v[25:26], v[27:28], v[25:26]
	v_div_scale_f64 v[27:28], vcc_lo, v[10:11], v[16:17], v[10:11]
	v_mul_f64 v[29:30], v[27:28], v[25:26]
	v_fma_f64 v[23:24], -v[23:24], v[29:30], v[27:28]
	v_div_fmas_f64 v[23:24], v[23:24], v[25:26], v[29:30]
	v_div_fixup_f64 v[10:11], v[23:24], v[16:17], v[10:11]
	global_store_dwordx2 v[13:14], v[10:11], off
	v_cmpx_lt_i32_e64 v12, v22
	s_cbranch_execz .LBB17_35
; %bb.41:                               ;   in Loop: Header=BB17_37 Depth=1
	s_mov_b32 s18, 0
	s_branch .LBB17_43
.LBB17_42:                              ;   in Loop: Header=BB17_43 Depth=2
	s_or_b32 exec_lo, exec_lo, s19
	v_add_nc_u32_e32 v12, 32, v12
	v_cmp_ge_i32_e32 vcc_lo, v12, v22
	s_or_b32 s18, vcc_lo, s18
	s_andn2_b32 exec_lo, exec_lo, s18
	s_cbranch_execz .LBB17_35
.LBB17_43:                              ;   Parent Loop BB17_37 Depth=1
                                        ; =>  This Loop Header: Depth=2
                                        ;       Child Loop BB17_52 Depth 3
	v_ashrrev_i32_e32 v13, 31, v12
	s_mov_b32 s19, 0
                                        ; implicit-def: $sgpr26
                                        ; implicit-def: $sgpr27
                                        ; implicit-def: $sgpr28
	v_lshlrev_b64 v[14:15], 2, v[12:13]
	v_add_co_u32 v14, vcc_lo, s10, v14
	v_add_co_ci_u32_e64 v15, null, s11, v15, vcc_lo
	global_load_dword v14, v[14:15], off
	v_mov_b32_e32 v15, 0x100
	s_waitcnt vmcnt(0)
	v_mul_lo_u32 v17, 0x67, v14
	s_branch .LBB17_52
.LBB17_44:                              ;   in Loop: Header=BB17_52 Depth=3
	s_or_b32 exec_lo, exec_lo, s39
	s_orn2_b32 s37, s37, exec_lo
	s_orn2_b32 s38, s38, exec_lo
.LBB17_45:                              ;   in Loop: Header=BB17_52 Depth=3
	s_or_b32 exec_lo, exec_lo, s36
	s_and_b32 s37, s37, exec_lo
	s_orn2_b32 s36, s38, exec_lo
.LBB17_46:                              ;   in Loop: Header=BB17_52 Depth=3
	s_or_b32 exec_lo, exec_lo, s35
	s_orn2_b32 s35, s37, exec_lo
	s_orn2_b32 s36, s36, exec_lo
.LBB17_47:                              ;   in Loop: Header=BB17_52 Depth=3
	s_or_b32 exec_lo, exec_lo, s34
	s_and_b32 s35, s35, exec_lo
	s_orn2_b32 s34, s36, exec_lo
.LBB17_48:                              ;   in Loop: Header=BB17_52 Depth=3
	s_or_b32 exec_lo, exec_lo, s33
	s_orn2_b32 s33, s35, exec_lo
	s_orn2_b32 s34, s34, exec_lo
.LBB17_49:                              ;   in Loop: Header=BB17_52 Depth=3
	s_or_b32 exec_lo, exec_lo, s31
	s_and_b32 s33, s33, exec_lo
	s_orn2_b32 s31, s34, exec_lo
.LBB17_50:                              ;   in Loop: Header=BB17_52 Depth=3
	s_or_b32 exec_lo, exec_lo, s30
	s_andn2_b32 s28, s28, exec_lo
	s_and_b32 s30, s33, exec_lo
	s_andn2_b32 s27, s27, exec_lo
	s_and_b32 s31, s31, exec_lo
	s_or_b32 s28, s28, s30
	s_or_b32 s27, s27, s31
.LBB17_51:                              ;   in Loop: Header=BB17_52 Depth=3
	s_or_b32 exec_lo, exec_lo, s29
	s_and_b32 s29, exec_lo, s27
	s_or_b32 s19, s29, s19
	s_andn2_b32 s26, s26, exec_lo
	s_and_b32 s29, s28, exec_lo
	s_or_b32 s26, s26, s29
	s_andn2_b32 exec_lo, exec_lo, s19
	s_cbranch_execz .LBB17_61
.LBB17_52:                              ;   Parent Loop BB17_37 Depth=1
                                        ;     Parent Loop BB17_43 Depth=2
                                        ; =>    This Inner Loop Header: Depth=3
	v_and_b32_e32 v16, 0xff, v17
	s_or_b32 s28, s28, exec_lo
	s_or_b32 s27, s27, exec_lo
	s_mov_b32 s29, exec_lo
	v_lshl_add_u32 v23, v16, 2, v20
	ds_read_b32 v23, v23
	s_waitcnt lgkmcnt(0)
	v_cmpx_ne_u32_e32 -1, v23
	s_cbranch_execz .LBB17_51
; %bb.53:                               ;   in Loop: Header=BB17_52 Depth=3
	s_mov_b32 s31, -1
	s_mov_b32 s33, 0
	s_mov_b32 s30, exec_lo
	v_cmpx_ne_u32_e64 v23, v14
	s_cbranch_execz .LBB17_50
; %bb.54:                               ;   in Loop: Header=BB17_52 Depth=3
	v_add_nc_u32_e32 v16, 1, v17
	s_mov_b32 s34, -1
	s_mov_b32 s33, -1
	s_mov_b32 s31, exec_lo
	v_and_b32_e32 v16, 0xff, v16
	v_lshl_add_u32 v23, v16, 2, v20
	ds_read_b32 v23, v23
	s_waitcnt lgkmcnt(0)
	v_cmpx_ne_u32_e32 -1, v23
	s_cbranch_execz .LBB17_49
; %bb.55:                               ;   in Loop: Header=BB17_52 Depth=3
	s_mov_b32 s35, 0
	s_mov_b32 s33, exec_lo
	v_cmpx_ne_u32_e64 v23, v14
	s_cbranch_execz .LBB17_48
; %bb.56:                               ;   in Loop: Header=BB17_52 Depth=3
	v_add_nc_u32_e32 v16, 2, v17
	s_mov_b32 s36, -1
	s_mov_b32 s35, -1
	s_mov_b32 s34, exec_lo
	v_and_b32_e32 v16, 0xff, v16
	v_lshl_add_u32 v23, v16, 2, v20
	ds_read_b32 v23, v23
	s_waitcnt lgkmcnt(0)
	v_cmpx_ne_u32_e32 -1, v23
	s_cbranch_execz .LBB17_47
; %bb.57:                               ;   in Loop: Header=BB17_52 Depth=3
	s_mov_b32 s37, 0
	s_mov_b32 s35, exec_lo
	v_cmpx_ne_u32_e64 v23, v14
	s_cbranch_execz .LBB17_46
; %bb.58:                               ;   in Loop: Header=BB17_52 Depth=3
	v_add_nc_u32_e32 v16, 3, v17
	s_mov_b32 s38, -1
	s_mov_b32 s37, -1
	s_mov_b32 s36, exec_lo
	v_and_b32_e32 v16, 0xff, v16
	v_lshl_add_u32 v17, v16, 2, v20
	ds_read_b32 v23, v17
                                        ; implicit-def: $vgpr17
	s_waitcnt lgkmcnt(0)
	v_cmpx_ne_u32_e32 -1, v23
	s_cbranch_execz .LBB17_45
; %bb.59:                               ;   in Loop: Header=BB17_52 Depth=3
	s_mov_b32 s37, 0
	s_mov_b32 s39, exec_lo
                                        ; implicit-def: $vgpr17
	v_cmpx_ne_u32_e64 v23, v14
	s_cbranch_execz .LBB17_44
; %bb.60:                               ;   in Loop: Header=BB17_52 Depth=3
	v_add_nc_u32_e32 v15, -4, v15
	v_add_nc_u32_e32 v17, 1, v16
	s_mov_b32 s37, exec_lo
	v_cmp_eq_u32_e32 vcc_lo, 0, v15
	s_orn2_b32 s38, vcc_lo, exec_lo
	s_branch .LBB17_44
.LBB17_61:                              ;   in Loop: Header=BB17_43 Depth=2
	s_or_b32 exec_lo, exec_lo, s19
	s_xor_b32 s19, s26, -1
	s_and_saveexec_b32 s26, s19
	s_xor_b32 s19, exec_lo, s26
	s_cbranch_execz .LBB17_42
; %bb.62:                               ;   in Loop: Header=BB17_43 Depth=2
	v_lshl_add_u32 v14, v16, 2, v0
	v_lshlrev_b64 v[16:17], 3, v[12:13]
	ds_read_b32 v14, v14
	s_waitcnt lgkmcnt(0)
	v_ashrrev_i32_e32 v15, 31, v14
	v_lshlrev_b64 v[13:14], 3, v[14:15]
	v_add_co_u32 v15, vcc_lo, s12, v16
	v_add_co_ci_u32_e64 v16, null, s13, v17, vcc_lo
	v_add_co_u32 v13, vcc_lo, s12, v13
	v_add_co_ci_u32_e64 v14, null, s13, v14, vcc_lo
	s_clause 0x1
	global_load_dwordx2 v[15:16], v[15:16], off
	global_load_dwordx2 v[23:24], v[13:14], off
	s_waitcnt vmcnt(0)
	v_fma_f64 v[15:16], -v[10:11], v[15:16], v[23:24]
	global_store_dwordx2 v[13:14], v[15:16], off
	s_branch .LBB17_42
.LBB17_63:
	s_or_b32 exec_lo, exec_lo, s0
	s_mov_b32 s6, -1
	s_mov_b32 s1, exec_lo
	s_waitcnt_vscnt null, 0x0
	buffer_gl0_inv
	v_cmpx_lt_i32_e32 -1, v8
	s_cbranch_execz .LBB17_79
; %bb.64:
	v_mov_b32_e32 v9, 0
	v_cmp_eq_u32_e64 s0, 0, v18
	v_lshlrev_b64 v[8:9], 3, v[8:9]
	v_add_co_u32 v12, vcc_lo, s12, v8
	v_add_co_ci_u32_e64 v13, null, s13, v9, vcc_lo
	global_load_dwordx2 v[8:9], v[12:13], off
	s_waitcnt vmcnt(0)
	v_cmp_gt_f64_e32 vcc_lo, 0, v[8:9]
	v_xor_b32_e32 v0, 0x80000000, v9
	v_mov_b32_e32 v10, v8
	v_cndmask_b32_e32 v11, v9, v0, vcc_lo
	s_andn2_b32 vcc_lo, exec_lo, s3
	s_cbranch_vccnz .LBB17_68
; %bb.65:
	v_cvt_f64_f32_e32 v[14:15], v19
	s_cmp_eq_u64 s[24:25], 8
	s_cselect_b32 vcc_lo, -1, 0
	v_cndmask_b32_e32 v4, v15, v4, vcc_lo
	v_cndmask_b32_e32 v3, v14, v3, vcc_lo
	v_cmp_le_f64_e32 vcc_lo, v[10:11], v[3:4]
	s_and_b32 s6, s0, vcc_lo
	s_and_saveexec_b32 s3, s6
	s_cbranch_execz .LBB17_67
; %bb.66:
	global_store_dwordx2 v[12:13], v[5:6], off
	s_waitcnt_vscnt null, 0x0
	buffer_gl1_inv
	buffer_gl0_inv
.LBB17_67:
	s_or_b32 exec_lo, exec_lo, s3
	s_mov_b32 s6, 0
.LBB17_68:
	s_andn2_b32 vcc_lo, exec_lo, s6
	s_cbranch_vccnz .LBB17_79
; %bb.69:
	s_load_dwordx2 s[4:5], s[4:5], 0x48
	v_add_nc_u32_e32 v0, s2, v7
	s_waitcnt lgkmcnt(0)
	v_cmp_ge_f64_e32 vcc_lo, s[4:5], v[10:11]
	s_and_b32 s3, s0, vcc_lo
	s_and_saveexec_b32 s2, s3
	s_cbranch_execz .LBB17_74
; %bb.70:
	s_mov_b32 s4, exec_lo
	s_brev_b32 s3, -2
.LBB17_71:                              ; =>This Inner Loop Header: Depth=1
	s_ff1_i32_b32 s5, s4
	v_readlane_b32 s6, v0, s5
	s_lshl_b32 s5, 1, s5
	s_andn2_b32 s4, s4, s5
	s_min_i32 s3, s3, s6
	s_cmp_lg_u32 s4, 0
	s_cbranch_scc1 .LBB17_71
; %bb.72:
	v_mbcnt_lo_u32_b32 v3, exec_lo, 0
	s_mov_b32 s4, exec_lo
	v_cmpx_eq_u32_e32 0, v3
	s_xor_b32 s4, exec_lo, s4
	s_cbranch_execz .LBB17_74
; %bb.73:
	v_mov_b32_e32 v3, 0
	v_mov_b32_e32 v4, s3
	global_atomic_smin v3, v4, s[22:23]
.LBB17_74:
	s_or_b32 exec_lo, exec_lo, s2
	v_cmp_eq_f64_e32 vcc_lo, 0, v[8:9]
	s_and_b32 s0, s0, vcc_lo
	s_and_b32 exec_lo, exec_lo, s0
	s_cbranch_execz .LBB17_79
; %bb.75:
	s_mov_b32 s2, exec_lo
	s_brev_b32 s0, -2
.LBB17_76:                              ; =>This Inner Loop Header: Depth=1
	s_ff1_i32_b32 s3, s2
	v_readlane_b32 s4, v0, s3
	s_lshl_b32 s3, 1, s3
	s_andn2_b32 s2, s2, s3
	s_min_i32 s0, s0, s4
	s_cmp_lg_u32 s2, 0
	s_cbranch_scc1 .LBB17_76
; %bb.77:
	v_mbcnt_lo_u32_b32 v0, exec_lo, 0
	s_mov_b32 s2, exec_lo
	v_cmpx_eq_u32_e32 0, v0
	s_xor_b32 s2, exec_lo, s2
	s_cbranch_execz .LBB17_79
; %bb.78:
	v_mov_b32_e32 v0, 0
	v_mov_b32_e32 v3, s0
	global_atomic_smin v0, v3, s[20:21]
.LBB17_79:
	s_or_b32 exec_lo, exec_lo, s1
	v_cmp_eq_u32_e32 vcc_lo, 0, v18
	s_waitcnt_vscnt null, 0x0
	buffer_gl1_inv
	buffer_gl0_inv
	s_and_b32 exec_lo, exec_lo, vcc_lo
	s_cbranch_execz .LBB17_81
; %bb.80:
	v_add_co_u32 v0, vcc_lo, s16, v1
	v_add_co_ci_u32_e64 v1, null, s17, v2, vcc_lo
	v_mov_b32_e32 v2, 1
	global_store_dword v[0:1], v2, off
.LBB17_81:
	s_endpgm
	.section	.rodata,"a",@progbits
	.p2align	6, 0x0
	.amdhsa_kernel _ZN9rocsparseL12csrilu0_hashILj256ELj32ELj8EdEEviPKiS2_PT2_S2_PiS2_S5_S5_d21rocsparse_index_base_imNS_24const_host_device_scalarIfEENS7_IdEENS7_IS3_EEb
		.amdhsa_group_segment_fixed_size 16384
		.amdhsa_private_segment_fixed_size 0
		.amdhsa_kernarg_size 124
		.amdhsa_user_sgpr_count 6
		.amdhsa_user_sgpr_private_segment_buffer 1
		.amdhsa_user_sgpr_dispatch_ptr 0
		.amdhsa_user_sgpr_queue_ptr 0
		.amdhsa_user_sgpr_kernarg_segment_ptr 1
		.amdhsa_user_sgpr_dispatch_id 0
		.amdhsa_user_sgpr_flat_scratch_init 0
		.amdhsa_user_sgpr_private_segment_size 0
		.amdhsa_wavefront_size32 1
		.amdhsa_uses_dynamic_stack 0
		.amdhsa_system_sgpr_private_segment_wavefront_offset 0
		.amdhsa_system_sgpr_workgroup_id_x 1
		.amdhsa_system_sgpr_workgroup_id_y 0
		.amdhsa_system_sgpr_workgroup_id_z 0
		.amdhsa_system_sgpr_workgroup_info 0
		.amdhsa_system_vgpr_workitem_id 0
		.amdhsa_next_free_vgpr 31
		.amdhsa_next_free_sgpr 40
		.amdhsa_reserve_vcc 1
		.amdhsa_reserve_flat_scratch 0
		.amdhsa_float_round_mode_32 0
		.amdhsa_float_round_mode_16_64 0
		.amdhsa_float_denorm_mode_32 3
		.amdhsa_float_denorm_mode_16_64 3
		.amdhsa_dx10_clamp 1
		.amdhsa_ieee_mode 1
		.amdhsa_fp16_overflow 0
		.amdhsa_workgroup_processor_mode 1
		.amdhsa_memory_ordered 1
		.amdhsa_forward_progress 1
		.amdhsa_shared_vgpr_count 0
		.amdhsa_exception_fp_ieee_invalid_op 0
		.amdhsa_exception_fp_denorm_src 0
		.amdhsa_exception_fp_ieee_div_zero 0
		.amdhsa_exception_fp_ieee_overflow 0
		.amdhsa_exception_fp_ieee_underflow 0
		.amdhsa_exception_fp_ieee_inexact 0
		.amdhsa_exception_int_div_zero 0
	.end_amdhsa_kernel
	.section	.text._ZN9rocsparseL12csrilu0_hashILj256ELj32ELj8EdEEviPKiS2_PT2_S2_PiS2_S5_S5_d21rocsparse_index_base_imNS_24const_host_device_scalarIfEENS7_IdEENS7_IS3_EEb,"axG",@progbits,_ZN9rocsparseL12csrilu0_hashILj256ELj32ELj8EdEEviPKiS2_PT2_S2_PiS2_S5_S5_d21rocsparse_index_base_imNS_24const_host_device_scalarIfEENS7_IdEENS7_IS3_EEb,comdat
.Lfunc_end17:
	.size	_ZN9rocsparseL12csrilu0_hashILj256ELj32ELj8EdEEviPKiS2_PT2_S2_PiS2_S5_S5_d21rocsparse_index_base_imNS_24const_host_device_scalarIfEENS7_IdEENS7_IS3_EEb, .Lfunc_end17-_ZN9rocsparseL12csrilu0_hashILj256ELj32ELj8EdEEviPKiS2_PT2_S2_PiS2_S5_S5_d21rocsparse_index_base_imNS_24const_host_device_scalarIfEENS7_IdEENS7_IS3_EEb
                                        ; -- End function
	.set _ZN9rocsparseL12csrilu0_hashILj256ELj32ELj8EdEEviPKiS2_PT2_S2_PiS2_S5_S5_d21rocsparse_index_base_imNS_24const_host_device_scalarIfEENS7_IdEENS7_IS3_EEb.num_vgpr, 31
	.set _ZN9rocsparseL12csrilu0_hashILj256ELj32ELj8EdEEviPKiS2_PT2_S2_PiS2_S5_S5_d21rocsparse_index_base_imNS_24const_host_device_scalarIfEENS7_IdEENS7_IS3_EEb.num_agpr, 0
	.set _ZN9rocsparseL12csrilu0_hashILj256ELj32ELj8EdEEviPKiS2_PT2_S2_PiS2_S5_S5_d21rocsparse_index_base_imNS_24const_host_device_scalarIfEENS7_IdEENS7_IS3_EEb.numbered_sgpr, 40
	.set _ZN9rocsparseL12csrilu0_hashILj256ELj32ELj8EdEEviPKiS2_PT2_S2_PiS2_S5_S5_d21rocsparse_index_base_imNS_24const_host_device_scalarIfEENS7_IdEENS7_IS3_EEb.num_named_barrier, 0
	.set _ZN9rocsparseL12csrilu0_hashILj256ELj32ELj8EdEEviPKiS2_PT2_S2_PiS2_S5_S5_d21rocsparse_index_base_imNS_24const_host_device_scalarIfEENS7_IdEENS7_IS3_EEb.private_seg_size, 0
	.set _ZN9rocsparseL12csrilu0_hashILj256ELj32ELj8EdEEviPKiS2_PT2_S2_PiS2_S5_S5_d21rocsparse_index_base_imNS_24const_host_device_scalarIfEENS7_IdEENS7_IS3_EEb.uses_vcc, 1
	.set _ZN9rocsparseL12csrilu0_hashILj256ELj32ELj8EdEEviPKiS2_PT2_S2_PiS2_S5_S5_d21rocsparse_index_base_imNS_24const_host_device_scalarIfEENS7_IdEENS7_IS3_EEb.uses_flat_scratch, 0
	.set _ZN9rocsparseL12csrilu0_hashILj256ELj32ELj8EdEEviPKiS2_PT2_S2_PiS2_S5_S5_d21rocsparse_index_base_imNS_24const_host_device_scalarIfEENS7_IdEENS7_IS3_EEb.has_dyn_sized_stack, 0
	.set _ZN9rocsparseL12csrilu0_hashILj256ELj32ELj8EdEEviPKiS2_PT2_S2_PiS2_S5_S5_d21rocsparse_index_base_imNS_24const_host_device_scalarIfEENS7_IdEENS7_IS3_EEb.has_recursion, 0
	.set _ZN9rocsparseL12csrilu0_hashILj256ELj32ELj8EdEEviPKiS2_PT2_S2_PiS2_S5_S5_d21rocsparse_index_base_imNS_24const_host_device_scalarIfEENS7_IdEENS7_IS3_EEb.has_indirect_call, 0
	.section	.AMDGPU.csdata,"",@progbits
; Kernel info:
; codeLenInByte = 2724
; TotalNumSgprs: 42
; NumVgprs: 31
; ScratchSize: 0
; MemoryBound: 0
; FloatMode: 240
; IeeeMode: 1
; LDSByteSize: 16384 bytes/workgroup (compile time only)
; SGPRBlocks: 0
; VGPRBlocks: 3
; NumSGPRsForWavesPerEU: 42
; NumVGPRsForWavesPerEU: 31
; Occupancy: 16
; WaveLimiterHint : 1
; COMPUTE_PGM_RSRC2:SCRATCH_EN: 0
; COMPUTE_PGM_RSRC2:USER_SGPR: 6
; COMPUTE_PGM_RSRC2:TRAP_HANDLER: 0
; COMPUTE_PGM_RSRC2:TGID_X_EN: 1
; COMPUTE_PGM_RSRC2:TGID_Y_EN: 0
; COMPUTE_PGM_RSRC2:TGID_Z_EN: 0
; COMPUTE_PGM_RSRC2:TIDIG_COMP_CNT: 0
	.section	.text._ZN9rocsparseL12csrilu0_hashILj256ELj32ELj16EdEEviPKiS2_PT2_S2_PiS2_S5_S5_d21rocsparse_index_base_imNS_24const_host_device_scalarIfEENS7_IdEENS7_IS3_EEb,"axG",@progbits,_ZN9rocsparseL12csrilu0_hashILj256ELj32ELj16EdEEviPKiS2_PT2_S2_PiS2_S5_S5_d21rocsparse_index_base_imNS_24const_host_device_scalarIfEENS7_IdEENS7_IS3_EEb,comdat
	.globl	_ZN9rocsparseL12csrilu0_hashILj256ELj32ELj16EdEEviPKiS2_PT2_S2_PiS2_S5_S5_d21rocsparse_index_base_imNS_24const_host_device_scalarIfEENS7_IdEENS7_IS3_EEb ; -- Begin function _ZN9rocsparseL12csrilu0_hashILj256ELj32ELj16EdEEviPKiS2_PT2_S2_PiS2_S5_S5_d21rocsparse_index_base_imNS_24const_host_device_scalarIfEENS7_IdEENS7_IS3_EEb
	.p2align	8
	.type	_ZN9rocsparseL12csrilu0_hashILj256ELj32ELj16EdEEviPKiS2_PT2_S2_PiS2_S5_S5_d21rocsparse_index_base_imNS_24const_host_device_scalarIfEENS7_IdEENS7_IS3_EEb,@function
_ZN9rocsparseL12csrilu0_hashILj256ELj32ELj16EdEEviPKiS2_PT2_S2_PiS2_S5_S5_d21rocsparse_index_base_imNS_24const_host_device_scalarIfEENS7_IdEENS7_IS3_EEb: ; @_ZN9rocsparseL12csrilu0_hashILj256ELj32ELj16EdEEviPKiS2_PT2_S2_PiS2_S5_S5_d21rocsparse_index_base_imNS_24const_host_device_scalarIfEENS7_IdEENS7_IS3_EEb
; %bb.0:
	s_clause 0x2
	s_load_dword s0, s[4:5], 0x78
	s_load_dwordx2 s[2:3], s[4:5], 0x50
	s_load_dwordx8 s[24:31], s[4:5], 0x58
	s_waitcnt lgkmcnt(0)
	s_bitcmp1_b32 s0, 0
	s_cselect_b32 s0, -1, 0
	s_cmp_eq_u32 s3, 0
	s_cselect_b32 s7, -1, 0
	s_cmp_lg_u32 s3, 0
	s_cselect_b32 s3, -1, 0
	s_or_b32 s9, s7, s0
	s_xor_b32 s8, s9, -1
	s_and_b32 s0, s7, exec_lo
	s_cselect_b32 s1, 0, s29
	s_cselect_b32 s0, 0, s28
	s_and_b32 vcc_lo, exec_lo, s9
	s_cbranch_vccnz .LBB18_2
; %bb.1:
	s_load_dword s0, s[26:27], 0x0
	s_waitcnt lgkmcnt(0)
	v_mov_b32_e32 v19, s0
	s_mov_b64 s[0:1], s[28:29]
	s_branch .LBB18_3
.LBB18_2:
	v_cndmask_b32_e64 v19, s26, 0, s7
.LBB18_3:
	v_mov_b32_e32 v4, s1
	v_cndmask_b32_e64 v1, 0, 1, s8
	v_mov_b32_e32 v3, s0
	s_andn2_b32 vcc_lo, exec_lo, s8
	s_cbranch_vccnz .LBB18_5
; %bb.4:
	v_mov_b32_e32 v2, s28
	v_mov_b32_e32 v3, s29
	flat_load_dwordx2 v[3:4], v[2:3]
.LBB18_5:
	s_and_b32 s0, s7, exec_lo
	s_cselect_b32 s1, 0, s31
	v_cmp_ne_u32_e32 vcc_lo, 1, v1
	s_cselect_b32 s0, 0, s30
	v_mov_b32_e32 v6, s1
	v_mov_b32_e32 v5, s0
	s_mov_b32 s0, 0
	s_cbranch_vccnz .LBB18_7
; %bb.6:
	v_mov_b32_e32 v1, s30
	v_mov_b32_e32 v2, s31
	flat_load_dwordx2 v[5:6], v[1:2]
.LBB18_7:
	v_lshrrev_b32_e32 v1, 5, v0
	v_and_b32_e32 v18, 31, v0
	v_lshlrev_b32_e32 v7, 11, v1
	v_lshlrev_b32_e32 v8, 2, v18
	v_or_b32_e32 v2, 0xffffffe0, v18
	v_or3_b32 v7, v7, v8, 0x4000
	v_mov_b32_e32 v8, -1
.LBB18_8:                               ; =>This Inner Loop Header: Depth=1
	v_add_nc_u32_e32 v2, 32, v2
	ds_write_b32 v7, v8
	v_add_nc_u32_e32 v7, 0x80, v7
	v_cmp_lt_u32_e32 vcc_lo, 0x1df, v2
	s_or_b32 s0, vcc_lo, s0
	s_andn2_b32 exec_lo, exec_lo, s0
	s_cbranch_execnz .LBB18_8
; %bb.9:
	s_or_b32 exec_lo, exec_lo, s0
	s_load_dword s0, s[4:5], 0x0
	s_lshl_b32 s1, s6, 3
	s_waitcnt vmcnt(0) lgkmcnt(0)
	buffer_gl0_inv
	v_and_or_b32 v1, 0x7fffff8, s1, v1
	v_cmp_gt_i32_e32 vcc_lo, s0, v1
	s_and_saveexec_b32 s0, vcc_lo
	s_cbranch_execz .LBB18_81
; %bb.10:
	s_load_dwordx16 s[8:23], s[4:5], 0x8
	v_lshlrev_b32_e32 v1, 2, v1
	v_lshlrev_b32_e32 v0, 6, v0
	s_mov_b32 s0, exec_lo
	v_and_b32_e32 v0, 0x3800, v0
	v_or_b32_e32 v20, 0x4000, v0
	s_waitcnt lgkmcnt(0)
	global_load_dword v7, v1, s[18:19]
	s_waitcnt vmcnt(0)
	v_ashrrev_i32_e32 v8, 31, v7
	v_lshlrev_b64 v[1:2], 2, v[7:8]
	v_add_co_u32 v8, vcc_lo, s8, v1
	v_add_co_ci_u32_e64 v9, null, s9, v2, vcc_lo
	v_add_co_u32 v11, vcc_lo, s14, v1
	v_add_co_ci_u32_e64 v12, null, s15, v2, vcc_lo
	global_load_dwordx2 v[9:10], v[8:9], off
	global_load_dword v8, v[11:12], off
	s_waitcnt vmcnt(1)
	v_subrev_nc_u32_e32 v9, s2, v9
	v_subrev_nc_u32_e32 v12, s2, v10
	v_add_nc_u32_e32 v10, v9, v18
	v_cmpx_lt_i32_e64 v10, v12
	s_cbranch_execz .LBB18_33
; %bb.11:
	v_mov_b32_e32 v13, -1
	s_mov_b32 s1, 0
	s_branch .LBB18_13
.LBB18_12:                              ;   in Loop: Header=BB18_13 Depth=1
	s_or_b32 exec_lo, exec_lo, s6
	v_add_nc_u32_e32 v10, 32, v10
	v_cmp_ge_i32_e32 vcc_lo, v10, v12
	s_or_b32 s1, vcc_lo, s1
	s_andn2_b32 exec_lo, exec_lo, s1
	s_cbranch_execz .LBB18_33
.LBB18_13:                              ; =>This Loop Header: Depth=1
                                        ;     Child Loop BB18_22 Depth 2
	v_ashrrev_i32_e32 v11, 31, v10
	s_mov_b32 s6, 0
                                        ; implicit-def: $sgpr7
                                        ; implicit-def: $sgpr18
                                        ; implicit-def: $sgpr19
	v_lshlrev_b64 v[14:15], 2, v[10:11]
	v_add_co_u32 v14, vcc_lo, s10, v14
	v_add_co_ci_u32_e64 v15, null, s11, v15, vcc_lo
	global_load_dword v11, v[14:15], off
	v_mov_b32_e32 v14, 0x200
	s_waitcnt vmcnt(0)
	v_mul_lo_u32 v16, 0x67, v11
	s_branch .LBB18_22
.LBB18_14:                              ;   in Loop: Header=BB18_22 Depth=2
	s_or_b32 exec_lo, exec_lo, s36
	s_orn2_b32 s34, s34, exec_lo
	s_orn2_b32 s35, s35, exec_lo
.LBB18_15:                              ;   in Loop: Header=BB18_22 Depth=2
	s_or_b32 exec_lo, exec_lo, s33
	s_and_b32 s34, s34, exec_lo
	s_orn2_b32 s33, s35, exec_lo
.LBB18_16:                              ;   in Loop: Header=BB18_22 Depth=2
	s_or_b32 exec_lo, exec_lo, s31
	s_orn2_b32 s31, s34, exec_lo
	s_orn2_b32 s33, s33, exec_lo
.LBB18_17:                              ;   in Loop: Header=BB18_22 Depth=2
	s_or_b32 exec_lo, exec_lo, s30
	s_and_b32 s31, s31, exec_lo
	s_orn2_b32 s30, s33, exec_lo
.LBB18_18:                              ;   in Loop: Header=BB18_22 Depth=2
	s_or_b32 exec_lo, exec_lo, s29
	s_orn2_b32 s29, s31, exec_lo
	s_orn2_b32 s30, s30, exec_lo
.LBB18_19:                              ;   in Loop: Header=BB18_22 Depth=2
	s_or_b32 exec_lo, exec_lo, s28
	s_and_b32 s29, s29, exec_lo
	s_orn2_b32 s28, s30, exec_lo
.LBB18_20:                              ;   in Loop: Header=BB18_22 Depth=2
	s_or_b32 exec_lo, exec_lo, s27
	s_andn2_b32 s19, s19, exec_lo
	s_and_b32 s27, s29, exec_lo
	s_andn2_b32 s18, s18, exec_lo
	s_and_b32 s28, s28, exec_lo
	s_or_b32 s19, s19, s27
	s_or_b32 s18, s18, s28
.LBB18_21:                              ;   in Loop: Header=BB18_22 Depth=2
	s_or_b32 exec_lo, exec_lo, s26
	s_and_b32 s26, exec_lo, s18
	s_or_b32 s6, s26, s6
	s_andn2_b32 s7, s7, exec_lo
	s_and_b32 s26, s19, exec_lo
	s_or_b32 s7, s7, s26
	s_andn2_b32 exec_lo, exec_lo, s6
	s_cbranch_execz .LBB18_31
.LBB18_22:                              ;   Parent Loop BB18_13 Depth=1
                                        ; =>  This Inner Loop Header: Depth=2
	v_and_b32_e32 v15, 0x1ff, v16
	s_or_b32 s19, s19, exec_lo
	s_or_b32 s18, s18, exec_lo
	s_mov_b32 s26, exec_lo
	v_lshl_add_u32 v17, v15, 2, v20
	ds_read_b32 v21, v17
	s_waitcnt lgkmcnt(0)
	v_cmpx_ne_u32_e64 v21, v11
	s_cbranch_execz .LBB18_21
; %bb.23:                               ;   in Loop: Header=BB18_22 Depth=2
	ds_cmpst_rtn_b32 v17, v17, v13, v11
	s_mov_b32 s28, -1
	s_mov_b32 s29, 0
	s_mov_b32 s27, exec_lo
	s_waitcnt lgkmcnt(0)
	v_cmpx_ne_u32_e32 -1, v17
	s_cbranch_execz .LBB18_20
; %bb.24:                               ;   in Loop: Header=BB18_22 Depth=2
	v_add_nc_u32_e32 v15, 1, v16
	s_mov_b32 s30, -1
	s_mov_b32 s29, -1
	s_mov_b32 s28, exec_lo
	v_and_b32_e32 v15, 0x1ff, v15
	v_lshl_add_u32 v17, v15, 2, v20
	ds_read_b32 v21, v17
	s_waitcnt lgkmcnt(0)
	v_cmpx_ne_u32_e64 v21, v11
	s_cbranch_execz .LBB18_19
; %bb.25:                               ;   in Loop: Header=BB18_22 Depth=2
	ds_cmpst_rtn_b32 v17, v17, v13, v11
	s_mov_b32 s31, 0
	s_mov_b32 s29, exec_lo
	s_waitcnt lgkmcnt(0)
	v_cmpx_ne_u32_e32 -1, v17
	s_cbranch_execz .LBB18_18
; %bb.26:                               ;   in Loop: Header=BB18_22 Depth=2
	v_add_nc_u32_e32 v15, 2, v16
	s_mov_b32 s33, -1
	s_mov_b32 s31, -1
	s_mov_b32 s30, exec_lo
	v_and_b32_e32 v15, 0x1ff, v15
	v_lshl_add_u32 v17, v15, 2, v20
	ds_read_b32 v21, v17
	s_waitcnt lgkmcnt(0)
	v_cmpx_ne_u32_e64 v21, v11
	s_cbranch_execz .LBB18_17
; %bb.27:                               ;   in Loop: Header=BB18_22 Depth=2
	ds_cmpst_rtn_b32 v17, v17, v13, v11
	s_mov_b32 s34, 0
	s_mov_b32 s31, exec_lo
	s_waitcnt lgkmcnt(0)
	v_cmpx_ne_u32_e32 -1, v17
	s_cbranch_execz .LBB18_16
; %bb.28:                               ;   in Loop: Header=BB18_22 Depth=2
	v_add_nc_u32_e32 v15, 3, v16
	s_mov_b32 s35, -1
	s_mov_b32 s34, -1
	v_and_b32_e32 v15, 0x1ff, v15
	v_lshl_add_u32 v17, v15, 2, v20
	ds_read_b32 v16, v17
	s_waitcnt lgkmcnt(0)
	v_cmp_ne_u32_e32 vcc_lo, v16, v11
                                        ; implicit-def: $vgpr16
	s_and_saveexec_b32 s33, vcc_lo
	s_cbranch_execz .LBB18_15
; %bb.29:                               ;   in Loop: Header=BB18_22 Depth=2
	ds_cmpst_rtn_b32 v16, v17, v13, v11
	s_mov_b32 s34, 0
	s_waitcnt lgkmcnt(0)
	v_cmp_ne_u32_e32 vcc_lo, -1, v16
                                        ; implicit-def: $vgpr16
	s_and_saveexec_b32 s36, vcc_lo
	s_cbranch_execz .LBB18_14
; %bb.30:                               ;   in Loop: Header=BB18_22 Depth=2
	v_add_nc_u32_e32 v14, -4, v14
	v_add_nc_u32_e32 v16, 1, v15
	s_mov_b32 s34, exec_lo
	v_cmp_eq_u32_e32 vcc_lo, 0, v14
	s_orn2_b32 s35, vcc_lo, exec_lo
	s_branch .LBB18_14
.LBB18_31:                              ;   in Loop: Header=BB18_13 Depth=1
	s_or_b32 exec_lo, exec_lo, s6
	s_xor_b32 s6, s7, -1
	s_and_saveexec_b32 s7, s6
	s_xor_b32 s6, exec_lo, s7
	s_cbranch_execz .LBB18_12
; %bb.32:                               ;   in Loop: Header=BB18_13 Depth=1
	v_lshl_add_u32 v11, v15, 2, v0
	ds_write_b32 v11, v10
	s_branch .LBB18_12
.LBB18_33:
	s_or_b32 exec_lo, exec_lo, s0
	s_mov_b32 s0, exec_lo
	s_waitcnt vmcnt(0) lgkmcnt(0)
	buffer_gl0_inv
	v_cmpx_lt_i32_e64 v9, v8
	s_cbranch_execz .LBB18_63
; %bb.34:
	v_add_nc_u32_e32 v21, 1, v18
	s_mov_b32 s1, 0
	s_branch .LBB18_37
.LBB18_35:                              ;   in Loop: Header=BB18_37 Depth=1
	s_or_b32 exec_lo, exec_lo, s7
	v_add_nc_u32_e32 v9, 1, v9
	v_cmp_ge_i32_e32 vcc_lo, v9, v8
	s_orn2_b32 s7, vcc_lo, exec_lo
.LBB18_36:                              ;   in Loop: Header=BB18_37 Depth=1
	s_or_b32 exec_lo, exec_lo, s6
	s_and_b32 s6, exec_lo, s7
	s_or_b32 s1, s6, s1
	s_andn2_b32 exec_lo, exec_lo, s1
	s_cbranch_execz .LBB18_63
.LBB18_37:                              ; =>This Loop Header: Depth=1
                                        ;     Child Loop BB18_38 Depth 2
                                        ;     Child Loop BB18_43 Depth 2
                                        ;       Child Loop BB18_52 Depth 3
	v_ashrrev_i32_e32 v10, 31, v9
	s_mov_b32 s6, 0
	v_lshlrev_b64 v[11:12], 2, v[9:10]
	v_lshlrev_b64 v[13:14], 3, v[9:10]
	v_add_co_u32 v11, vcc_lo, s10, v11
	v_add_co_ci_u32_e64 v12, null, s11, v12, vcc_lo
	v_add_co_u32 v13, vcc_lo, s12, v13
	v_add_co_ci_u32_e64 v14, null, s13, v14, vcc_lo
	global_load_dword v11, v[11:12], off
	s_waitcnt vmcnt(0)
	v_subrev_nc_u32_e32 v11, s2, v11
	v_ashrrev_i32_e32 v12, 31, v11
	v_lshlrev_b64 v[15:16], 2, v[11:12]
	v_add_co_u32 v22, vcc_lo, s8, v15
	v_add_co_ci_u32_e64 v23, null, s9, v16, vcc_lo
	v_add_co_u32 v24, vcc_lo, s14, v15
	v_add_co_ci_u32_e64 v25, null, s15, v16, vcc_lo
	global_load_dwordx2 v[10:11], v[13:14], off
	global_load_dword v12, v[22:23], off offset:4
	global_load_dword v17, v[24:25], off
	v_add_co_u32 v15, vcc_lo, s16, v15
	v_add_co_ci_u32_e64 v16, null, s17, v16, vcc_lo
.LBB18_38:                              ;   Parent Loop BB18_37 Depth=1
                                        ; =>  This Inner Loop Header: Depth=2
	global_load_dword v22, v[15:16], off glc dlc
	s_waitcnt vmcnt(0)
	v_cmp_ne_u32_e32 vcc_lo, 0, v22
	s_or_b32 s6, vcc_lo, s6
	s_andn2_b32 exec_lo, exec_lo, s6
	s_cbranch_execnz .LBB18_38
; %bb.39:                               ;   in Loop: Header=BB18_37 Depth=1
	s_or_b32 exec_lo, exec_lo, s6
	v_subrev_nc_u32_e32 v22, s2, v12
	v_cmp_eq_u32_e32 vcc_lo, -1, v17
	buffer_gl1_inv
	buffer_gl0_inv
	s_mov_b32 s7, -1
	s_mov_b32 s6, exec_lo
	v_add_nc_u32_e32 v12, -1, v22
	v_cndmask_b32_e32 v15, v17, v12, vcc_lo
	v_ashrrev_i32_e32 v16, 31, v15
	v_lshlrev_b64 v[16:17], 3, v[15:16]
	v_add_co_u32 v16, vcc_lo, s12, v16
	v_add_co_ci_u32_e64 v17, null, s13, v17, vcc_lo
	global_load_dwordx2 v[16:17], v[16:17], off
	s_waitcnt vmcnt(0)
	v_cmpx_neq_f64_e32 0, v[16:17]
	s_cbranch_execz .LBB18_36
; %bb.40:                               ;   in Loop: Header=BB18_37 Depth=1
	v_div_scale_f64 v[23:24], null, v[16:17], v[16:17], v[10:11]
	v_add_nc_u32_e32 v12, v21, v15
	s_mov_b32 s7, exec_lo
	v_rcp_f64_e32 v[25:26], v[23:24]
	v_fma_f64 v[27:28], -v[23:24], v[25:26], 1.0
	v_fma_f64 v[25:26], v[25:26], v[27:28], v[25:26]
	v_fma_f64 v[27:28], -v[23:24], v[25:26], 1.0
	v_fma_f64 v[25:26], v[25:26], v[27:28], v[25:26]
	v_div_scale_f64 v[27:28], vcc_lo, v[10:11], v[16:17], v[10:11]
	v_mul_f64 v[29:30], v[27:28], v[25:26]
	v_fma_f64 v[23:24], -v[23:24], v[29:30], v[27:28]
	v_div_fmas_f64 v[23:24], v[23:24], v[25:26], v[29:30]
	v_div_fixup_f64 v[10:11], v[23:24], v[16:17], v[10:11]
	global_store_dwordx2 v[13:14], v[10:11], off
	v_cmpx_lt_i32_e64 v12, v22
	s_cbranch_execz .LBB18_35
; %bb.41:                               ;   in Loop: Header=BB18_37 Depth=1
	s_mov_b32 s18, 0
	s_branch .LBB18_43
.LBB18_42:                              ;   in Loop: Header=BB18_43 Depth=2
	s_or_b32 exec_lo, exec_lo, s19
	v_add_nc_u32_e32 v12, 32, v12
	v_cmp_ge_i32_e32 vcc_lo, v12, v22
	s_or_b32 s18, vcc_lo, s18
	s_andn2_b32 exec_lo, exec_lo, s18
	s_cbranch_execz .LBB18_35
.LBB18_43:                              ;   Parent Loop BB18_37 Depth=1
                                        ; =>  This Loop Header: Depth=2
                                        ;       Child Loop BB18_52 Depth 3
	v_ashrrev_i32_e32 v13, 31, v12
	s_mov_b32 s19, 0
                                        ; implicit-def: $sgpr26
                                        ; implicit-def: $sgpr27
                                        ; implicit-def: $sgpr28
	v_lshlrev_b64 v[14:15], 2, v[12:13]
	v_add_co_u32 v14, vcc_lo, s10, v14
	v_add_co_ci_u32_e64 v15, null, s11, v15, vcc_lo
	global_load_dword v14, v[14:15], off
	v_mov_b32_e32 v15, 0x200
	s_waitcnt vmcnt(0)
	v_mul_lo_u32 v17, 0x67, v14
	s_branch .LBB18_52
.LBB18_44:                              ;   in Loop: Header=BB18_52 Depth=3
	s_or_b32 exec_lo, exec_lo, s39
	s_orn2_b32 s37, s37, exec_lo
	s_orn2_b32 s38, s38, exec_lo
.LBB18_45:                              ;   in Loop: Header=BB18_52 Depth=3
	s_or_b32 exec_lo, exec_lo, s36
	s_and_b32 s37, s37, exec_lo
	s_orn2_b32 s36, s38, exec_lo
.LBB18_46:                              ;   in Loop: Header=BB18_52 Depth=3
	s_or_b32 exec_lo, exec_lo, s35
	s_orn2_b32 s35, s37, exec_lo
	s_orn2_b32 s36, s36, exec_lo
.LBB18_47:                              ;   in Loop: Header=BB18_52 Depth=3
	s_or_b32 exec_lo, exec_lo, s34
	s_and_b32 s35, s35, exec_lo
	s_orn2_b32 s34, s36, exec_lo
.LBB18_48:                              ;   in Loop: Header=BB18_52 Depth=3
	s_or_b32 exec_lo, exec_lo, s33
	s_orn2_b32 s33, s35, exec_lo
	s_orn2_b32 s34, s34, exec_lo
.LBB18_49:                              ;   in Loop: Header=BB18_52 Depth=3
	s_or_b32 exec_lo, exec_lo, s31
	s_and_b32 s33, s33, exec_lo
	s_orn2_b32 s31, s34, exec_lo
.LBB18_50:                              ;   in Loop: Header=BB18_52 Depth=3
	s_or_b32 exec_lo, exec_lo, s30
	s_andn2_b32 s28, s28, exec_lo
	s_and_b32 s30, s33, exec_lo
	s_andn2_b32 s27, s27, exec_lo
	s_and_b32 s31, s31, exec_lo
	s_or_b32 s28, s28, s30
	s_or_b32 s27, s27, s31
.LBB18_51:                              ;   in Loop: Header=BB18_52 Depth=3
	s_or_b32 exec_lo, exec_lo, s29
	s_and_b32 s29, exec_lo, s27
	s_or_b32 s19, s29, s19
	s_andn2_b32 s26, s26, exec_lo
	s_and_b32 s29, s28, exec_lo
	s_or_b32 s26, s26, s29
	s_andn2_b32 exec_lo, exec_lo, s19
	s_cbranch_execz .LBB18_61
.LBB18_52:                              ;   Parent Loop BB18_37 Depth=1
                                        ;     Parent Loop BB18_43 Depth=2
                                        ; =>    This Inner Loop Header: Depth=3
	v_and_b32_e32 v16, 0x1ff, v17
	s_or_b32 s28, s28, exec_lo
	s_or_b32 s27, s27, exec_lo
	s_mov_b32 s29, exec_lo
	v_lshl_add_u32 v23, v16, 2, v20
	ds_read_b32 v23, v23
	s_waitcnt lgkmcnt(0)
	v_cmpx_ne_u32_e32 -1, v23
	s_cbranch_execz .LBB18_51
; %bb.53:                               ;   in Loop: Header=BB18_52 Depth=3
	s_mov_b32 s31, -1
	s_mov_b32 s33, 0
	s_mov_b32 s30, exec_lo
	v_cmpx_ne_u32_e64 v23, v14
	s_cbranch_execz .LBB18_50
; %bb.54:                               ;   in Loop: Header=BB18_52 Depth=3
	v_add_nc_u32_e32 v16, 1, v17
	s_mov_b32 s34, -1
	s_mov_b32 s33, -1
	s_mov_b32 s31, exec_lo
	v_and_b32_e32 v16, 0x1ff, v16
	v_lshl_add_u32 v23, v16, 2, v20
	ds_read_b32 v23, v23
	s_waitcnt lgkmcnt(0)
	v_cmpx_ne_u32_e32 -1, v23
	s_cbranch_execz .LBB18_49
; %bb.55:                               ;   in Loop: Header=BB18_52 Depth=3
	s_mov_b32 s35, 0
	s_mov_b32 s33, exec_lo
	v_cmpx_ne_u32_e64 v23, v14
	s_cbranch_execz .LBB18_48
; %bb.56:                               ;   in Loop: Header=BB18_52 Depth=3
	v_add_nc_u32_e32 v16, 2, v17
	s_mov_b32 s36, -1
	s_mov_b32 s35, -1
	s_mov_b32 s34, exec_lo
	v_and_b32_e32 v16, 0x1ff, v16
	v_lshl_add_u32 v23, v16, 2, v20
	ds_read_b32 v23, v23
	s_waitcnt lgkmcnt(0)
	v_cmpx_ne_u32_e32 -1, v23
	s_cbranch_execz .LBB18_47
; %bb.57:                               ;   in Loop: Header=BB18_52 Depth=3
	s_mov_b32 s37, 0
	s_mov_b32 s35, exec_lo
	v_cmpx_ne_u32_e64 v23, v14
	s_cbranch_execz .LBB18_46
; %bb.58:                               ;   in Loop: Header=BB18_52 Depth=3
	v_add_nc_u32_e32 v16, 3, v17
	s_mov_b32 s38, -1
	s_mov_b32 s37, -1
	s_mov_b32 s36, exec_lo
	v_and_b32_e32 v16, 0x1ff, v16
	v_lshl_add_u32 v17, v16, 2, v20
	ds_read_b32 v23, v17
                                        ; implicit-def: $vgpr17
	s_waitcnt lgkmcnt(0)
	v_cmpx_ne_u32_e32 -1, v23
	s_cbranch_execz .LBB18_45
; %bb.59:                               ;   in Loop: Header=BB18_52 Depth=3
	s_mov_b32 s37, 0
	s_mov_b32 s39, exec_lo
                                        ; implicit-def: $vgpr17
	v_cmpx_ne_u32_e64 v23, v14
	s_cbranch_execz .LBB18_44
; %bb.60:                               ;   in Loop: Header=BB18_52 Depth=3
	v_add_nc_u32_e32 v15, -4, v15
	v_add_nc_u32_e32 v17, 1, v16
	s_mov_b32 s37, exec_lo
	v_cmp_eq_u32_e32 vcc_lo, 0, v15
	s_orn2_b32 s38, vcc_lo, exec_lo
	s_branch .LBB18_44
.LBB18_61:                              ;   in Loop: Header=BB18_43 Depth=2
	s_or_b32 exec_lo, exec_lo, s19
	s_xor_b32 s19, s26, -1
	s_and_saveexec_b32 s26, s19
	s_xor_b32 s19, exec_lo, s26
	s_cbranch_execz .LBB18_42
; %bb.62:                               ;   in Loop: Header=BB18_43 Depth=2
	v_lshl_add_u32 v14, v16, 2, v0
	v_lshlrev_b64 v[16:17], 3, v[12:13]
	ds_read_b32 v14, v14
	s_waitcnt lgkmcnt(0)
	v_ashrrev_i32_e32 v15, 31, v14
	v_lshlrev_b64 v[13:14], 3, v[14:15]
	v_add_co_u32 v15, vcc_lo, s12, v16
	v_add_co_ci_u32_e64 v16, null, s13, v17, vcc_lo
	v_add_co_u32 v13, vcc_lo, s12, v13
	v_add_co_ci_u32_e64 v14, null, s13, v14, vcc_lo
	s_clause 0x1
	global_load_dwordx2 v[15:16], v[15:16], off
	global_load_dwordx2 v[23:24], v[13:14], off
	s_waitcnt vmcnt(0)
	v_fma_f64 v[15:16], -v[10:11], v[15:16], v[23:24]
	global_store_dwordx2 v[13:14], v[15:16], off
	s_branch .LBB18_42
.LBB18_63:
	s_or_b32 exec_lo, exec_lo, s0
	s_mov_b32 s6, -1
	s_mov_b32 s1, exec_lo
	s_waitcnt_vscnt null, 0x0
	buffer_gl0_inv
	v_cmpx_lt_i32_e32 -1, v8
	s_cbranch_execz .LBB18_79
; %bb.64:
	v_mov_b32_e32 v9, 0
	v_cmp_eq_u32_e64 s0, 0, v18
	v_lshlrev_b64 v[8:9], 3, v[8:9]
	v_add_co_u32 v12, vcc_lo, s12, v8
	v_add_co_ci_u32_e64 v13, null, s13, v9, vcc_lo
	global_load_dwordx2 v[8:9], v[12:13], off
	s_waitcnt vmcnt(0)
	v_cmp_gt_f64_e32 vcc_lo, 0, v[8:9]
	v_xor_b32_e32 v0, 0x80000000, v9
	v_mov_b32_e32 v10, v8
	v_cndmask_b32_e32 v11, v9, v0, vcc_lo
	s_andn2_b32 vcc_lo, exec_lo, s3
	s_cbranch_vccnz .LBB18_68
; %bb.65:
	v_cvt_f64_f32_e32 v[14:15], v19
	s_cmp_eq_u64 s[24:25], 8
	s_cselect_b32 vcc_lo, -1, 0
	v_cndmask_b32_e32 v4, v15, v4, vcc_lo
	v_cndmask_b32_e32 v3, v14, v3, vcc_lo
	v_cmp_le_f64_e32 vcc_lo, v[10:11], v[3:4]
	s_and_b32 s6, s0, vcc_lo
	s_and_saveexec_b32 s3, s6
	s_cbranch_execz .LBB18_67
; %bb.66:
	global_store_dwordx2 v[12:13], v[5:6], off
	s_waitcnt_vscnt null, 0x0
	buffer_gl1_inv
	buffer_gl0_inv
.LBB18_67:
	s_or_b32 exec_lo, exec_lo, s3
	s_mov_b32 s6, 0
.LBB18_68:
	s_andn2_b32 vcc_lo, exec_lo, s6
	s_cbranch_vccnz .LBB18_79
; %bb.69:
	s_load_dwordx2 s[4:5], s[4:5], 0x48
	v_add_nc_u32_e32 v0, s2, v7
	s_waitcnt lgkmcnt(0)
	v_cmp_ge_f64_e32 vcc_lo, s[4:5], v[10:11]
	s_and_b32 s3, s0, vcc_lo
	s_and_saveexec_b32 s2, s3
	s_cbranch_execz .LBB18_74
; %bb.70:
	s_mov_b32 s4, exec_lo
	s_brev_b32 s3, -2
.LBB18_71:                              ; =>This Inner Loop Header: Depth=1
	s_ff1_i32_b32 s5, s4
	v_readlane_b32 s6, v0, s5
	s_lshl_b32 s5, 1, s5
	s_andn2_b32 s4, s4, s5
	s_min_i32 s3, s3, s6
	s_cmp_lg_u32 s4, 0
	s_cbranch_scc1 .LBB18_71
; %bb.72:
	v_mbcnt_lo_u32_b32 v3, exec_lo, 0
	s_mov_b32 s4, exec_lo
	v_cmpx_eq_u32_e32 0, v3
	s_xor_b32 s4, exec_lo, s4
	s_cbranch_execz .LBB18_74
; %bb.73:
	v_mov_b32_e32 v3, 0
	v_mov_b32_e32 v4, s3
	global_atomic_smin v3, v4, s[22:23]
.LBB18_74:
	s_or_b32 exec_lo, exec_lo, s2
	v_cmp_eq_f64_e32 vcc_lo, 0, v[8:9]
	s_and_b32 s0, s0, vcc_lo
	s_and_b32 exec_lo, exec_lo, s0
	s_cbranch_execz .LBB18_79
; %bb.75:
	s_mov_b32 s2, exec_lo
	s_brev_b32 s0, -2
.LBB18_76:                              ; =>This Inner Loop Header: Depth=1
	s_ff1_i32_b32 s3, s2
	v_readlane_b32 s4, v0, s3
	s_lshl_b32 s3, 1, s3
	s_andn2_b32 s2, s2, s3
	s_min_i32 s0, s0, s4
	s_cmp_lg_u32 s2, 0
	s_cbranch_scc1 .LBB18_76
; %bb.77:
	v_mbcnt_lo_u32_b32 v0, exec_lo, 0
	s_mov_b32 s2, exec_lo
	v_cmpx_eq_u32_e32 0, v0
	s_xor_b32 s2, exec_lo, s2
	s_cbranch_execz .LBB18_79
; %bb.78:
	v_mov_b32_e32 v0, 0
	v_mov_b32_e32 v3, s0
	global_atomic_smin v0, v3, s[20:21]
.LBB18_79:
	s_or_b32 exec_lo, exec_lo, s1
	v_cmp_eq_u32_e32 vcc_lo, 0, v18
	s_waitcnt_vscnt null, 0x0
	buffer_gl1_inv
	buffer_gl0_inv
	s_and_b32 exec_lo, exec_lo, vcc_lo
	s_cbranch_execz .LBB18_81
; %bb.80:
	v_add_co_u32 v0, vcc_lo, s16, v1
	v_add_co_ci_u32_e64 v1, null, s17, v2, vcc_lo
	v_mov_b32_e32 v2, 1
	global_store_dword v[0:1], v2, off
.LBB18_81:
	s_endpgm
	.section	.rodata,"a",@progbits
	.p2align	6, 0x0
	.amdhsa_kernel _ZN9rocsparseL12csrilu0_hashILj256ELj32ELj16EdEEviPKiS2_PT2_S2_PiS2_S5_S5_d21rocsparse_index_base_imNS_24const_host_device_scalarIfEENS7_IdEENS7_IS3_EEb
		.amdhsa_group_segment_fixed_size 32768
		.amdhsa_private_segment_fixed_size 0
		.amdhsa_kernarg_size 124
		.amdhsa_user_sgpr_count 6
		.amdhsa_user_sgpr_private_segment_buffer 1
		.amdhsa_user_sgpr_dispatch_ptr 0
		.amdhsa_user_sgpr_queue_ptr 0
		.amdhsa_user_sgpr_kernarg_segment_ptr 1
		.amdhsa_user_sgpr_dispatch_id 0
		.amdhsa_user_sgpr_flat_scratch_init 0
		.amdhsa_user_sgpr_private_segment_size 0
		.amdhsa_wavefront_size32 1
		.amdhsa_uses_dynamic_stack 0
		.amdhsa_system_sgpr_private_segment_wavefront_offset 0
		.amdhsa_system_sgpr_workgroup_id_x 1
		.amdhsa_system_sgpr_workgroup_id_y 0
		.amdhsa_system_sgpr_workgroup_id_z 0
		.amdhsa_system_sgpr_workgroup_info 0
		.amdhsa_system_vgpr_workitem_id 0
		.amdhsa_next_free_vgpr 113
		.amdhsa_next_free_sgpr 40
		.amdhsa_reserve_vcc 1
		.amdhsa_reserve_flat_scratch 0
		.amdhsa_float_round_mode_32 0
		.amdhsa_float_round_mode_16_64 0
		.amdhsa_float_denorm_mode_32 3
		.amdhsa_float_denorm_mode_16_64 3
		.amdhsa_dx10_clamp 1
		.amdhsa_ieee_mode 1
		.amdhsa_fp16_overflow 0
		.amdhsa_workgroup_processor_mode 1
		.amdhsa_memory_ordered 1
		.amdhsa_forward_progress 1
		.amdhsa_shared_vgpr_count 0
		.amdhsa_exception_fp_ieee_invalid_op 0
		.amdhsa_exception_fp_denorm_src 0
		.amdhsa_exception_fp_ieee_div_zero 0
		.amdhsa_exception_fp_ieee_overflow 0
		.amdhsa_exception_fp_ieee_underflow 0
		.amdhsa_exception_fp_ieee_inexact 0
		.amdhsa_exception_int_div_zero 0
	.end_amdhsa_kernel
	.section	.text._ZN9rocsparseL12csrilu0_hashILj256ELj32ELj16EdEEviPKiS2_PT2_S2_PiS2_S5_S5_d21rocsparse_index_base_imNS_24const_host_device_scalarIfEENS7_IdEENS7_IS3_EEb,"axG",@progbits,_ZN9rocsparseL12csrilu0_hashILj256ELj32ELj16EdEEviPKiS2_PT2_S2_PiS2_S5_S5_d21rocsparse_index_base_imNS_24const_host_device_scalarIfEENS7_IdEENS7_IS3_EEb,comdat
.Lfunc_end18:
	.size	_ZN9rocsparseL12csrilu0_hashILj256ELj32ELj16EdEEviPKiS2_PT2_S2_PiS2_S5_S5_d21rocsparse_index_base_imNS_24const_host_device_scalarIfEENS7_IdEENS7_IS3_EEb, .Lfunc_end18-_ZN9rocsparseL12csrilu0_hashILj256ELj32ELj16EdEEviPKiS2_PT2_S2_PiS2_S5_S5_d21rocsparse_index_base_imNS_24const_host_device_scalarIfEENS7_IdEENS7_IS3_EEb
                                        ; -- End function
	.set _ZN9rocsparseL12csrilu0_hashILj256ELj32ELj16EdEEviPKiS2_PT2_S2_PiS2_S5_S5_d21rocsparse_index_base_imNS_24const_host_device_scalarIfEENS7_IdEENS7_IS3_EEb.num_vgpr, 31
	.set _ZN9rocsparseL12csrilu0_hashILj256ELj32ELj16EdEEviPKiS2_PT2_S2_PiS2_S5_S5_d21rocsparse_index_base_imNS_24const_host_device_scalarIfEENS7_IdEENS7_IS3_EEb.num_agpr, 0
	.set _ZN9rocsparseL12csrilu0_hashILj256ELj32ELj16EdEEviPKiS2_PT2_S2_PiS2_S5_S5_d21rocsparse_index_base_imNS_24const_host_device_scalarIfEENS7_IdEENS7_IS3_EEb.numbered_sgpr, 40
	.set _ZN9rocsparseL12csrilu0_hashILj256ELj32ELj16EdEEviPKiS2_PT2_S2_PiS2_S5_S5_d21rocsparse_index_base_imNS_24const_host_device_scalarIfEENS7_IdEENS7_IS3_EEb.num_named_barrier, 0
	.set _ZN9rocsparseL12csrilu0_hashILj256ELj32ELj16EdEEviPKiS2_PT2_S2_PiS2_S5_S5_d21rocsparse_index_base_imNS_24const_host_device_scalarIfEENS7_IdEENS7_IS3_EEb.private_seg_size, 0
	.set _ZN9rocsparseL12csrilu0_hashILj256ELj32ELj16EdEEviPKiS2_PT2_S2_PiS2_S5_S5_d21rocsparse_index_base_imNS_24const_host_device_scalarIfEENS7_IdEENS7_IS3_EEb.uses_vcc, 1
	.set _ZN9rocsparseL12csrilu0_hashILj256ELj32ELj16EdEEviPKiS2_PT2_S2_PiS2_S5_S5_d21rocsparse_index_base_imNS_24const_host_device_scalarIfEENS7_IdEENS7_IS3_EEb.uses_flat_scratch, 0
	.set _ZN9rocsparseL12csrilu0_hashILj256ELj32ELj16EdEEviPKiS2_PT2_S2_PiS2_S5_S5_d21rocsparse_index_base_imNS_24const_host_device_scalarIfEENS7_IdEENS7_IS3_EEb.has_dyn_sized_stack, 0
	.set _ZN9rocsparseL12csrilu0_hashILj256ELj32ELj16EdEEviPKiS2_PT2_S2_PiS2_S5_S5_d21rocsparse_index_base_imNS_24const_host_device_scalarIfEENS7_IdEENS7_IS3_EEb.has_recursion, 0
	.set _ZN9rocsparseL12csrilu0_hashILj256ELj32ELj16EdEEviPKiS2_PT2_S2_PiS2_S5_S5_d21rocsparse_index_base_imNS_24const_host_device_scalarIfEENS7_IdEENS7_IS3_EEb.has_indirect_call, 0
	.section	.AMDGPU.csdata,"",@progbits
; Kernel info:
; codeLenInByte = 2724
; TotalNumSgprs: 42
; NumVgprs: 31
; ScratchSize: 0
; MemoryBound: 0
; FloatMode: 240
; IeeeMode: 1
; LDSByteSize: 32768 bytes/workgroup (compile time only)
; SGPRBlocks: 0
; VGPRBlocks: 14
; NumSGPRsForWavesPerEU: 42
; NumVGPRsForWavesPerEU: 113
; Occupancy: 8
; WaveLimiterHint : 1
; COMPUTE_PGM_RSRC2:SCRATCH_EN: 0
; COMPUTE_PGM_RSRC2:USER_SGPR: 6
; COMPUTE_PGM_RSRC2:TRAP_HANDLER: 0
; COMPUTE_PGM_RSRC2:TGID_X_EN: 1
; COMPUTE_PGM_RSRC2:TGID_Y_EN: 0
; COMPUTE_PGM_RSRC2:TGID_Z_EN: 0
; COMPUTE_PGM_RSRC2:TIDIG_COMP_CNT: 0
	.section	.text._ZN9rocsparseL17csrilu0_binsearchILj256ELj32ELb0EdEEviPKiS2_PT2_S2_PiS2_S5_S5_d21rocsparse_index_base_imNS_24const_host_device_scalarIfEENS7_IdEENS7_IS3_EEb,"axG",@progbits,_ZN9rocsparseL17csrilu0_binsearchILj256ELj32ELb0EdEEviPKiS2_PT2_S2_PiS2_S5_S5_d21rocsparse_index_base_imNS_24const_host_device_scalarIfEENS7_IdEENS7_IS3_EEb,comdat
	.globl	_ZN9rocsparseL17csrilu0_binsearchILj256ELj32ELb0EdEEviPKiS2_PT2_S2_PiS2_S5_S5_d21rocsparse_index_base_imNS_24const_host_device_scalarIfEENS7_IdEENS7_IS3_EEb ; -- Begin function _ZN9rocsparseL17csrilu0_binsearchILj256ELj32ELb0EdEEviPKiS2_PT2_S2_PiS2_S5_S5_d21rocsparse_index_base_imNS_24const_host_device_scalarIfEENS7_IdEENS7_IS3_EEb
	.p2align	8
	.type	_ZN9rocsparseL17csrilu0_binsearchILj256ELj32ELb0EdEEviPKiS2_PT2_S2_PiS2_S5_S5_d21rocsparse_index_base_imNS_24const_host_device_scalarIfEENS7_IdEENS7_IS3_EEb,@function
_ZN9rocsparseL17csrilu0_binsearchILj256ELj32ELb0EdEEviPKiS2_PT2_S2_PiS2_S5_S5_d21rocsparse_index_base_imNS_24const_host_device_scalarIfEENS7_IdEENS7_IS3_EEb: ; @_ZN9rocsparseL17csrilu0_binsearchILj256ELj32ELb0EdEEviPKiS2_PT2_S2_PiS2_S5_S5_d21rocsparse_index_base_imNS_24const_host_device_scalarIfEENS7_IdEENS7_IS3_EEb
; %bb.0:
	s_clause 0x2
	s_load_dword s0, s[4:5], 0x78
	s_load_dwordx2 s[2:3], s[4:5], 0x50
	s_load_dwordx8 s[24:31], s[4:5], 0x58
	s_waitcnt lgkmcnt(0)
	s_bitcmp1_b32 s0, 0
	s_cselect_b32 s0, -1, 0
	s_cmp_eq_u32 s3, 0
	s_cselect_b32 s7, -1, 0
	s_cmp_lg_u32 s3, 0
	s_cselect_b32 s3, -1, 0
	s_or_b32 s9, s7, s0
	s_xor_b32 s8, s9, -1
	s_and_b32 s0, s7, exec_lo
	s_cselect_b32 s1, 0, s29
	s_cselect_b32 s0, 0, s28
	s_and_b32 vcc_lo, exec_lo, s9
	s_cbranch_vccnz .LBB19_2
; %bb.1:
	s_load_dword s0, s[26:27], 0x0
	s_waitcnt lgkmcnt(0)
	v_mov_b32_e32 v18, s0
	s_mov_b64 s[0:1], s[28:29]
	s_branch .LBB19_3
.LBB19_2:
	v_cndmask_b32_e64 v18, s26, 0, s7
.LBB19_3:
	v_mov_b32_e32 v4, s1
	v_cndmask_b32_e64 v1, 0, 1, s8
	v_mov_b32_e32 v3, s0
	s_andn2_b32 vcc_lo, exec_lo, s8
	s_cbranch_vccnz .LBB19_5
; %bb.4:
	v_mov_b32_e32 v2, s28
	v_mov_b32_e32 v3, s29
	flat_load_dwordx2 v[3:4], v[2:3]
.LBB19_5:
	s_and_b32 s0, s7, exec_lo
	s_cselect_b32 s1, 0, s31
	v_cmp_ne_u32_e32 vcc_lo, 1, v1
	s_cselect_b32 s0, 0, s30
	v_mov_b32_e32 v6, s1
	v_mov_b32_e32 v5, s0
	s_cbranch_vccnz .LBB19_7
; %bb.6:
	v_mov_b32_e32 v1, s30
	v_mov_b32_e32 v2, s31
	flat_load_dwordx2 v[5:6], v[1:2]
.LBB19_7:
	s_load_dword s0, s[4:5], 0x0
	v_lshrrev_b32_e32 v1, 5, v0
	s_lshl_b32 s1, s6, 3
	v_and_or_b32 v1, 0x7fffff8, s1, v1
	s_waitcnt lgkmcnt(0)
	v_cmp_gt_i32_e32 vcc_lo, s0, v1
	s_and_saveexec_b32 s0, vcc_lo
	s_cbranch_execz .LBB19_43
; %bb.8:
	s_load_dwordx16 s[8:23], s[4:5], 0x8
	v_lshlrev_b32_e32 v1, 2, v1
	v_and_b32_e32 v0, 31, v0
	s_mov_b32 s0, exec_lo
	s_waitcnt lgkmcnt(0)
	global_load_dword v7, v1, s[18:19]
	s_waitcnt vmcnt(0)
	v_ashrrev_i32_e32 v8, 31, v7
	v_lshlrev_b64 v[1:2], 2, v[7:8]
	v_add_co_u32 v10, vcc_lo, s8, v1
	v_add_co_ci_u32_e64 v11, null, s9, v2, vcc_lo
	v_add_co_u32 v8, vcc_lo, s14, v1
	v_add_co_ci_u32_e64 v9, null, s15, v2, vcc_lo
	global_load_dword v12, v[10:11], off
	global_load_dword v8, v[8:9], off
	s_waitcnt vmcnt(1)
	v_subrev_nc_u32_e32 v9, s2, v12
	s_waitcnt vmcnt(0)
	v_cmpx_lt_i32_e64 v9, v8
	s_cbranch_execz .LBB19_25
; %bb.9:
	global_load_dword v10, v[10:11], off offset:4
	v_add_nc_u32_e32 v19, 1, v0
	s_mov_b32 s1, 0
	s_waitcnt vmcnt(0)
	v_xad_u32 v20, s2, -1, v10
	s_branch .LBB19_12
.LBB19_10:                              ;   in Loop: Header=BB19_12 Depth=1
	s_or_b32 exec_lo, exec_lo, s7
	v_cmp_ge_i32_e32 vcc_lo, v9, v8
	s_orn2_b32 s7, vcc_lo, exec_lo
.LBB19_11:                              ;   in Loop: Header=BB19_12 Depth=1
	s_or_b32 exec_lo, exec_lo, s6
	s_and_b32 s6, exec_lo, s7
	s_or_b32 s1, s6, s1
	s_andn2_b32 exec_lo, exec_lo, s1
	s_cbranch_execz .LBB19_25
.LBB19_12:                              ; =>This Loop Header: Depth=1
                                        ;     Child Loop BB19_14 Depth 2
                                        ;     Child Loop BB19_19 Depth 2
                                        ;       Child Loop BB19_21 Depth 3
	v_ashrrev_i32_e32 v10, 31, v9
	s_mov_b32 s6, exec_lo
	v_lshlrev_b64 v[11:12], 2, v[9:10]
	v_lshlrev_b64 v[13:14], 3, v[9:10]
	v_add_co_u32 v11, vcc_lo, s10, v11
	v_add_co_ci_u32_e64 v12, null, s11, v12, vcc_lo
	v_add_co_u32 v13, vcc_lo, s12, v13
	v_add_co_ci_u32_e64 v14, null, s13, v14, vcc_lo
	global_load_dword v11, v[11:12], off
	s_waitcnt vmcnt(0)
	v_subrev_nc_u32_e32 v11, s2, v11
	v_ashrrev_i32_e32 v12, 31, v11
	v_lshlrev_b64 v[10:11], 2, v[11:12]
	v_add_co_u32 v21, vcc_lo, s8, v10
	v_add_co_ci_u32_e64 v22, null, s9, v11, vcc_lo
	v_add_co_u32 v23, vcc_lo, s14, v10
	v_add_co_ci_u32_e64 v24, null, s15, v11, vcc_lo
	;; [unrolled: 2-line block ×3, first 2 shown]
	global_load_dwordx2 v[10:11], v[13:14], off
	global_load_dword v17, v[21:22], off offset:4
	global_load_dword v12, v[23:24], off
	global_load_dword v21, v[15:16], off glc dlc
	s_waitcnt vmcnt(0)
	v_cmpx_eq_u32_e32 0, v21
	s_cbranch_execz .LBB19_15
; %bb.13:                               ;   in Loop: Header=BB19_12 Depth=1
	s_mov_b32 s7, 0
.LBB19_14:                              ;   Parent Loop BB19_12 Depth=1
                                        ; =>  This Inner Loop Header: Depth=2
	global_load_dword v21, v[15:16], off glc dlc
	s_waitcnt vmcnt(0)
	v_cmp_ne_u32_e32 vcc_lo, 0, v21
	s_or_b32 s7, vcc_lo, s7
	s_andn2_b32 exec_lo, exec_lo, s7
	s_cbranch_execnz .LBB19_14
.LBB19_15:                              ;   in Loop: Header=BB19_12 Depth=1
	s_or_b32 exec_lo, exec_lo, s6
	v_subrev_nc_u32_e32 v21, s2, v17
	v_cmp_eq_u32_e32 vcc_lo, -1, v12
	buffer_gl1_inv
	buffer_gl0_inv
	s_mov_b32 s7, -1
	s_mov_b32 s6, exec_lo
	v_add_nc_u32_e32 v15, -1, v21
	v_cndmask_b32_e32 v15, v12, v15, vcc_lo
	v_ashrrev_i32_e32 v16, 31, v15
	v_lshlrev_b64 v[16:17], 3, v[15:16]
	v_add_co_u32 v16, vcc_lo, s12, v16
	v_add_co_ci_u32_e64 v17, null, s13, v17, vcc_lo
	global_load_dwordx2 v[16:17], v[16:17], off
	s_waitcnt vmcnt(0)
	v_cmpx_neq_f64_e32 0, v[16:17]
	s_xor_b32 s6, exec_lo, s6
	s_cbranch_execz .LBB19_11
; %bb.16:                               ;   in Loop: Header=BB19_12 Depth=1
	v_div_scale_f64 v[22:23], null, v[16:17], v[16:17], v[10:11]
	v_add_nc_u32_e32 v12, v19, v15
	v_add_nc_u32_e32 v9, 1, v9
	s_mov_b32 s7, exec_lo
	v_rcp_f64_e32 v[24:25], v[22:23]
	v_fma_f64 v[26:27], -v[22:23], v[24:25], 1.0
	v_fma_f64 v[24:25], v[24:25], v[26:27], v[24:25]
	v_fma_f64 v[26:27], -v[22:23], v[24:25], 1.0
	v_fma_f64 v[24:25], v[24:25], v[26:27], v[24:25]
	v_div_scale_f64 v[26:27], vcc_lo, v[10:11], v[16:17], v[10:11]
	v_mul_f64 v[28:29], v[26:27], v[24:25]
	v_fma_f64 v[22:23], -v[22:23], v[28:29], v[26:27]
	v_div_fmas_f64 v[22:23], v[22:23], v[24:25], v[28:29]
	v_div_fixup_f64 v[10:11], v[22:23], v[16:17], v[10:11]
	global_store_dwordx2 v[13:14], v[10:11], off
	v_cmpx_lt_i32_e64 v12, v21
	s_cbranch_execz .LBB19_10
; %bb.17:                               ;   in Loop: Header=BB19_12 Depth=1
	v_mov_b32_e32 v14, v9
	s_mov_b32 s18, 0
	s_branch .LBB19_19
.LBB19_18:                              ;   in Loop: Header=BB19_19 Depth=2
	s_or_b32 exec_lo, exec_lo, s19
	v_add_nc_u32_e32 v12, 32, v12
	v_cmp_ge_i32_e32 vcc_lo, v12, v21
	s_or_b32 s18, vcc_lo, s18
	s_andn2_b32 exec_lo, exec_lo, s18
	s_cbranch_execz .LBB19_10
.LBB19_19:                              ;   Parent Loop BB19_12 Depth=1
                                        ; =>  This Loop Header: Depth=2
                                        ;       Child Loop BB19_21 Depth 3
	v_add_nc_u32_e32 v13, v14, v20
	s_mov_b32 s19, exec_lo
	v_ashrrev_i32_e32 v15, 1, v13
	v_ashrrev_i32_e32 v13, 31, v12
	;; [unrolled: 1-line block ×3, first 2 shown]
	v_lshlrev_b64 v[22:23], 2, v[12:13]
	v_lshlrev_b64 v[16:17], 2, v[15:16]
	v_add_co_u32 v22, vcc_lo, s10, v22
	v_add_co_ci_u32_e64 v23, null, s11, v23, vcc_lo
	v_add_co_u32 v24, vcc_lo, s10, v16
	v_add_co_ci_u32_e64 v25, null, s11, v17, vcc_lo
	s_clause 0x1
	global_load_dword v17, v[22:23], off
	global_load_dword v16, v[24:25], off
	v_cmpx_lt_i32_e64 v14, v20
	s_cbranch_execz .LBB19_23
; %bb.20:                               ;   in Loop: Header=BB19_19 Depth=2
	v_mov_b32_e32 v22, v20
	s_mov_b32 s26, 0
	.p2align	6
.LBB19_21:                              ;   Parent Loop BB19_12 Depth=1
                                        ;     Parent Loop BB19_19 Depth=2
                                        ; =>    This Inner Loop Header: Depth=3
	v_add_nc_u32_e32 v23, 1, v15
	s_waitcnt vmcnt(0)
	v_cmp_lt_i32_e32 vcc_lo, v16, v17
	v_cndmask_b32_e32 v22, v15, v22, vcc_lo
	v_cndmask_b32_e32 v14, v14, v23, vcc_lo
	v_add_nc_u32_e32 v15, v22, v14
	v_ashrrev_i32_e32 v15, 1, v15
	v_ashrrev_i32_e32 v16, 31, v15
	v_lshlrev_b64 v[23:24], 2, v[15:16]
	v_add_co_u32 v23, vcc_lo, s10, v23
	v_add_co_ci_u32_e64 v24, null, s11, v24, vcc_lo
	v_cmp_ge_i32_e32 vcc_lo, v14, v22
	global_load_dword v16, v[23:24], off
	s_or_b32 s26, vcc_lo, s26
	s_andn2_b32 exec_lo, exec_lo, s26
	s_cbranch_execnz .LBB19_21
; %bb.22:                               ;   in Loop: Header=BB19_19 Depth=2
	s_or_b32 exec_lo, exec_lo, s26
.LBB19_23:                              ;   in Loop: Header=BB19_19 Depth=2
	s_or_b32 exec_lo, exec_lo, s19
	s_mov_b32 s19, exec_lo
	s_waitcnt vmcnt(0)
	v_cmpx_eq_u32_e64 v16, v17
	s_cbranch_execz .LBB19_18
; %bb.24:                               ;   in Loop: Header=BB19_19 Depth=2
	v_ashrrev_i32_e32 v15, 31, v14
	v_lshlrev_b64 v[16:17], 3, v[12:13]
	v_lshlrev_b64 v[22:23], 3, v[14:15]
	v_add_co_u32 v15, vcc_lo, s12, v16
	v_add_co_ci_u32_e64 v16, null, s13, v17, vcc_lo
	v_add_co_u32 v22, vcc_lo, s12, v22
	v_add_co_ci_u32_e64 v23, null, s13, v23, vcc_lo
	s_clause 0x1
	global_load_dwordx2 v[15:16], v[15:16], off
	global_load_dwordx2 v[24:25], v[22:23], off
	s_waitcnt vmcnt(0)
	v_fma_f64 v[15:16], -v[10:11], v[15:16], v[24:25]
	global_store_dwordx2 v[22:23], v[15:16], off
	s_branch .LBB19_18
.LBB19_25:
	s_or_b32 exec_lo, exec_lo, s0
	s_mov_b32 s6, -1
	s_mov_b32 s1, exec_lo
	s_waitcnt_vscnt null, 0x0
	buffer_gl0_inv
	v_cmpx_lt_i32_e32 -1, v8
	s_cbranch_execz .LBB19_41
; %bb.26:
	v_mov_b32_e32 v9, 0
	v_cmp_eq_u32_e64 s0, 0, v0
	v_lshlrev_b64 v[8:9], 3, v[8:9]
	v_add_co_u32 v10, vcc_lo, s12, v8
	v_add_co_ci_u32_e64 v11, null, s13, v9, vcc_lo
	global_load_dwordx2 v[8:9], v[10:11], off
	s_waitcnt vmcnt(0)
	v_cmp_gt_f64_e32 vcc_lo, 0, v[8:9]
	v_xor_b32_e32 v13, 0x80000000, v9
	v_mov_b32_e32 v12, v8
	v_cndmask_b32_e32 v13, v9, v13, vcc_lo
	s_andn2_b32 vcc_lo, exec_lo, s3
	s_cbranch_vccnz .LBB19_30
; %bb.27:
	v_cvt_f64_f32_e32 v[14:15], v18
	s_cmp_eq_u64 s[24:25], 8
	s_cselect_b32 vcc_lo, -1, 0
	v_cndmask_b32_e32 v4, v15, v4, vcc_lo
	v_cndmask_b32_e32 v3, v14, v3, vcc_lo
	v_cmp_le_f64_e32 vcc_lo, v[12:13], v[3:4]
	s_and_b32 s6, s0, vcc_lo
	s_and_saveexec_b32 s3, s6
	s_cbranch_execz .LBB19_29
; %bb.28:
	global_store_dwordx2 v[10:11], v[5:6], off
.LBB19_29:
	s_or_b32 exec_lo, exec_lo, s3
	s_mov_b32 s6, 0
.LBB19_30:
	s_andn2_b32 vcc_lo, exec_lo, s6
	s_cbranch_vccnz .LBB19_41
; %bb.31:
	s_load_dwordx2 s[4:5], s[4:5], 0x48
	v_add_nc_u32_e32 v3, s2, v7
	s_waitcnt lgkmcnt(0)
	v_cmp_ge_f64_e32 vcc_lo, s[4:5], v[12:13]
	s_and_b32 s3, s0, vcc_lo
	s_and_saveexec_b32 s2, s3
	s_cbranch_execz .LBB19_36
; %bb.32:
	s_mov_b32 s4, exec_lo
	s_brev_b32 s3, -2
.LBB19_33:                              ; =>This Inner Loop Header: Depth=1
	s_ff1_i32_b32 s5, s4
	v_readlane_b32 s6, v3, s5
	s_lshl_b32 s5, 1, s5
	s_andn2_b32 s4, s4, s5
	s_min_i32 s3, s3, s6
	s_cmp_lg_u32 s4, 0
	s_cbranch_scc1 .LBB19_33
; %bb.34:
	v_mbcnt_lo_u32_b32 v4, exec_lo, 0
	s_mov_b32 s4, exec_lo
	v_cmpx_eq_u32_e32 0, v4
	s_xor_b32 s4, exec_lo, s4
	s_cbranch_execz .LBB19_36
; %bb.35:
	v_mov_b32_e32 v4, 0
	v_mov_b32_e32 v5, s3
	global_atomic_smin v4, v5, s[22:23]
.LBB19_36:
	s_or_b32 exec_lo, exec_lo, s2
	v_cmp_eq_f64_e32 vcc_lo, 0, v[8:9]
	s_and_b32 s0, s0, vcc_lo
	s_and_b32 exec_lo, exec_lo, s0
	s_cbranch_execz .LBB19_41
; %bb.37:
	s_mov_b32 s2, exec_lo
	s_brev_b32 s0, -2
.LBB19_38:                              ; =>This Inner Loop Header: Depth=1
	s_ff1_i32_b32 s3, s2
	v_readlane_b32 s4, v3, s3
	s_lshl_b32 s3, 1, s3
	s_andn2_b32 s2, s2, s3
	s_min_i32 s0, s0, s4
	s_cmp_lg_u32 s2, 0
	s_cbranch_scc1 .LBB19_38
; %bb.39:
	v_mbcnt_lo_u32_b32 v3, exec_lo, 0
	s_mov_b32 s2, exec_lo
	v_cmpx_eq_u32_e32 0, v3
	s_xor_b32 s2, exec_lo, s2
	s_cbranch_execz .LBB19_41
; %bb.40:
	v_mov_b32_e32 v3, 0
	v_mov_b32_e32 v4, s0
	global_atomic_smin v3, v4, s[20:21]
.LBB19_41:
	s_or_b32 exec_lo, exec_lo, s1
	v_cmp_eq_u32_e32 vcc_lo, 0, v0
	s_waitcnt_vscnt null, 0x0
	buffer_gl1_inv
	buffer_gl0_inv
	s_and_b32 exec_lo, exec_lo, vcc_lo
	s_cbranch_execz .LBB19_43
; %bb.42:
	v_add_co_u32 v0, vcc_lo, s16, v1
	v_add_co_ci_u32_e64 v1, null, s17, v2, vcc_lo
	v_mov_b32_e32 v2, 1
	global_store_dword v[0:1], v2, off
.LBB19_43:
	s_endpgm
	.section	.rodata,"a",@progbits
	.p2align	6, 0x0
	.amdhsa_kernel _ZN9rocsparseL17csrilu0_binsearchILj256ELj32ELb0EdEEviPKiS2_PT2_S2_PiS2_S5_S5_d21rocsparse_index_base_imNS_24const_host_device_scalarIfEENS7_IdEENS7_IS3_EEb
		.amdhsa_group_segment_fixed_size 0
		.amdhsa_private_segment_fixed_size 0
		.amdhsa_kernarg_size 124
		.amdhsa_user_sgpr_count 6
		.amdhsa_user_sgpr_private_segment_buffer 1
		.amdhsa_user_sgpr_dispatch_ptr 0
		.amdhsa_user_sgpr_queue_ptr 0
		.amdhsa_user_sgpr_kernarg_segment_ptr 1
		.amdhsa_user_sgpr_dispatch_id 0
		.amdhsa_user_sgpr_flat_scratch_init 0
		.amdhsa_user_sgpr_private_segment_size 0
		.amdhsa_wavefront_size32 1
		.amdhsa_uses_dynamic_stack 0
		.amdhsa_system_sgpr_private_segment_wavefront_offset 0
		.amdhsa_system_sgpr_workgroup_id_x 1
		.amdhsa_system_sgpr_workgroup_id_y 0
		.amdhsa_system_sgpr_workgroup_id_z 0
		.amdhsa_system_sgpr_workgroup_info 0
		.amdhsa_system_vgpr_workitem_id 0
		.amdhsa_next_free_vgpr 30
		.amdhsa_next_free_sgpr 32
		.amdhsa_reserve_vcc 1
		.amdhsa_reserve_flat_scratch 0
		.amdhsa_float_round_mode_32 0
		.amdhsa_float_round_mode_16_64 0
		.amdhsa_float_denorm_mode_32 3
		.amdhsa_float_denorm_mode_16_64 3
		.amdhsa_dx10_clamp 1
		.amdhsa_ieee_mode 1
		.amdhsa_fp16_overflow 0
		.amdhsa_workgroup_processor_mode 1
		.amdhsa_memory_ordered 1
		.amdhsa_forward_progress 1
		.amdhsa_shared_vgpr_count 0
		.amdhsa_exception_fp_ieee_invalid_op 0
		.amdhsa_exception_fp_denorm_src 0
		.amdhsa_exception_fp_ieee_div_zero 0
		.amdhsa_exception_fp_ieee_overflow 0
		.amdhsa_exception_fp_ieee_underflow 0
		.amdhsa_exception_fp_ieee_inexact 0
		.amdhsa_exception_int_div_zero 0
	.end_amdhsa_kernel
	.section	.text._ZN9rocsparseL17csrilu0_binsearchILj256ELj32ELb0EdEEviPKiS2_PT2_S2_PiS2_S5_S5_d21rocsparse_index_base_imNS_24const_host_device_scalarIfEENS7_IdEENS7_IS3_EEb,"axG",@progbits,_ZN9rocsparseL17csrilu0_binsearchILj256ELj32ELb0EdEEviPKiS2_PT2_S2_PiS2_S5_S5_d21rocsparse_index_base_imNS_24const_host_device_scalarIfEENS7_IdEENS7_IS3_EEb,comdat
.Lfunc_end19:
	.size	_ZN9rocsparseL17csrilu0_binsearchILj256ELj32ELb0EdEEviPKiS2_PT2_S2_PiS2_S5_S5_d21rocsparse_index_base_imNS_24const_host_device_scalarIfEENS7_IdEENS7_IS3_EEb, .Lfunc_end19-_ZN9rocsparseL17csrilu0_binsearchILj256ELj32ELb0EdEEviPKiS2_PT2_S2_PiS2_S5_S5_d21rocsparse_index_base_imNS_24const_host_device_scalarIfEENS7_IdEENS7_IS3_EEb
                                        ; -- End function
	.set _ZN9rocsparseL17csrilu0_binsearchILj256ELj32ELb0EdEEviPKiS2_PT2_S2_PiS2_S5_S5_d21rocsparse_index_base_imNS_24const_host_device_scalarIfEENS7_IdEENS7_IS3_EEb.num_vgpr, 30
	.set _ZN9rocsparseL17csrilu0_binsearchILj256ELj32ELb0EdEEviPKiS2_PT2_S2_PiS2_S5_S5_d21rocsparse_index_base_imNS_24const_host_device_scalarIfEENS7_IdEENS7_IS3_EEb.num_agpr, 0
	.set _ZN9rocsparseL17csrilu0_binsearchILj256ELj32ELb0EdEEviPKiS2_PT2_S2_PiS2_S5_S5_d21rocsparse_index_base_imNS_24const_host_device_scalarIfEENS7_IdEENS7_IS3_EEb.numbered_sgpr, 32
	.set _ZN9rocsparseL17csrilu0_binsearchILj256ELj32ELb0EdEEviPKiS2_PT2_S2_PiS2_S5_S5_d21rocsparse_index_base_imNS_24const_host_device_scalarIfEENS7_IdEENS7_IS3_EEb.num_named_barrier, 0
	.set _ZN9rocsparseL17csrilu0_binsearchILj256ELj32ELb0EdEEviPKiS2_PT2_S2_PiS2_S5_S5_d21rocsparse_index_base_imNS_24const_host_device_scalarIfEENS7_IdEENS7_IS3_EEb.private_seg_size, 0
	.set _ZN9rocsparseL17csrilu0_binsearchILj256ELj32ELb0EdEEviPKiS2_PT2_S2_PiS2_S5_S5_d21rocsparse_index_base_imNS_24const_host_device_scalarIfEENS7_IdEENS7_IS3_EEb.uses_vcc, 1
	.set _ZN9rocsparseL17csrilu0_binsearchILj256ELj32ELb0EdEEviPKiS2_PT2_S2_PiS2_S5_S5_d21rocsparse_index_base_imNS_24const_host_device_scalarIfEENS7_IdEENS7_IS3_EEb.uses_flat_scratch, 0
	.set _ZN9rocsparseL17csrilu0_binsearchILj256ELj32ELb0EdEEviPKiS2_PT2_S2_PiS2_S5_S5_d21rocsparse_index_base_imNS_24const_host_device_scalarIfEENS7_IdEENS7_IS3_EEb.has_dyn_sized_stack, 0
	.set _ZN9rocsparseL17csrilu0_binsearchILj256ELj32ELb0EdEEviPKiS2_PT2_S2_PiS2_S5_S5_d21rocsparse_index_base_imNS_24const_host_device_scalarIfEENS7_IdEENS7_IS3_EEb.has_recursion, 0
	.set _ZN9rocsparseL17csrilu0_binsearchILj256ELj32ELb0EdEEviPKiS2_PT2_S2_PiS2_S5_S5_d21rocsparse_index_base_imNS_24const_host_device_scalarIfEENS7_IdEENS7_IS3_EEb.has_indirect_call, 0
	.section	.AMDGPU.csdata,"",@progbits
; Kernel info:
; codeLenInByte = 1676
; TotalNumSgprs: 34
; NumVgprs: 30
; ScratchSize: 0
; MemoryBound: 0
; FloatMode: 240
; IeeeMode: 1
; LDSByteSize: 0 bytes/workgroup (compile time only)
; SGPRBlocks: 0
; VGPRBlocks: 3
; NumSGPRsForWavesPerEU: 34
; NumVGPRsForWavesPerEU: 30
; Occupancy: 16
; WaveLimiterHint : 1
; COMPUTE_PGM_RSRC2:SCRATCH_EN: 0
; COMPUTE_PGM_RSRC2:USER_SGPR: 6
; COMPUTE_PGM_RSRC2:TRAP_HANDLER: 0
; COMPUTE_PGM_RSRC2:TGID_X_EN: 1
; COMPUTE_PGM_RSRC2:TGID_Y_EN: 0
; COMPUTE_PGM_RSRC2:TGID_Z_EN: 0
; COMPUTE_PGM_RSRC2:TIDIG_COMP_CNT: 0
	.section	.text._ZN9rocsparseL12csrilu0_hashILj256ELj64ELj1EdEEviPKiS2_PT2_S2_PiS2_S5_S5_d21rocsparse_index_base_imNS_24const_host_device_scalarIfEENS7_IdEENS7_IS3_EEb,"axG",@progbits,_ZN9rocsparseL12csrilu0_hashILj256ELj64ELj1EdEEviPKiS2_PT2_S2_PiS2_S5_S5_d21rocsparse_index_base_imNS_24const_host_device_scalarIfEENS7_IdEENS7_IS3_EEb,comdat
	.globl	_ZN9rocsparseL12csrilu0_hashILj256ELj64ELj1EdEEviPKiS2_PT2_S2_PiS2_S5_S5_d21rocsparse_index_base_imNS_24const_host_device_scalarIfEENS7_IdEENS7_IS3_EEb ; -- Begin function _ZN9rocsparseL12csrilu0_hashILj256ELj64ELj1EdEEviPKiS2_PT2_S2_PiS2_S5_S5_d21rocsparse_index_base_imNS_24const_host_device_scalarIfEENS7_IdEENS7_IS3_EEb
	.p2align	8
	.type	_ZN9rocsparseL12csrilu0_hashILj256ELj64ELj1EdEEviPKiS2_PT2_S2_PiS2_S5_S5_d21rocsparse_index_base_imNS_24const_host_device_scalarIfEENS7_IdEENS7_IS3_EEb,@function
_ZN9rocsparseL12csrilu0_hashILj256ELj64ELj1EdEEviPKiS2_PT2_S2_PiS2_S5_S5_d21rocsparse_index_base_imNS_24const_host_device_scalarIfEENS7_IdEENS7_IS3_EEb: ; @_ZN9rocsparseL12csrilu0_hashILj256ELj64ELj1EdEEviPKiS2_PT2_S2_PiS2_S5_S5_d21rocsparse_index_base_imNS_24const_host_device_scalarIfEENS7_IdEENS7_IS3_EEb
; %bb.0:
	s_clause 0x2
	s_load_dword s0, s[4:5], 0x78
	s_load_dwordx2 s[2:3], s[4:5], 0x50
	s_load_dwordx8 s[24:31], s[4:5], 0x58
	s_waitcnt lgkmcnt(0)
	s_bitcmp1_b32 s0, 0
	s_cselect_b32 s0, -1, 0
	s_cmp_eq_u32 s3, 0
	s_cselect_b32 s7, -1, 0
	s_cmp_lg_u32 s3, 0
	s_cselect_b32 s3, -1, 0
	s_or_b32 s9, s7, s0
	s_xor_b32 s8, s9, -1
	s_and_b32 s0, s7, exec_lo
	s_cselect_b32 s1, 0, s29
	s_cselect_b32 s0, 0, s28
	s_and_b32 vcc_lo, exec_lo, s9
	s_cbranch_vccnz .LBB20_2
; %bb.1:
	s_load_dword s0, s[26:27], 0x0
	s_waitcnt lgkmcnt(0)
	v_mov_b32_e32 v18, s0
	s_mov_b64 s[0:1], s[28:29]
	s_branch .LBB20_3
.LBB20_2:
	v_cndmask_b32_e64 v18, s26, 0, s7
.LBB20_3:
	v_mov_b32_e32 v3, s1
	v_cndmask_b32_e64 v1, 0, 1, s8
	v_mov_b32_e32 v2, s0
	s_andn2_b32 vcc_lo, exec_lo, s8
	s_cbranch_vccnz .LBB20_5
; %bb.4:
	v_mov_b32_e32 v2, s28
	v_mov_b32_e32 v3, s29
	flat_load_dwordx2 v[2:3], v[2:3]
.LBB20_5:
	s_and_b32 s0, s7, exec_lo
	s_cselect_b32 s1, 0, s31
	v_cmp_ne_u32_e32 vcc_lo, 1, v1
	s_cselect_b32 s0, 0, s30
	v_mov_b32_e32 v5, s1
	v_mov_b32_e32 v4, s0
	s_cbranch_vccnz .LBB20_7
; %bb.6:
	v_mov_b32_e32 v4, s30
	v_mov_b32_e32 v5, s31
	flat_load_dwordx2 v[4:5], v[4:5]
.LBB20_7:
	s_load_dword s0, s[4:5], 0x0
	v_and_b32_e32 v10, 0xc0, v0
	v_lshrrev_b32_e32 v1, 6, v0
	s_lshl_b32 s1, s6, 2
	v_and_b32_e32 v17, 63, v0
	v_mov_b32_e32 v6, -1
	v_lshl_or_b32 v19, v10, 2, 0x400
	v_and_or_b32 v0, 0x3fffffc, s1, v1
	v_lshl_or_b32 v1, v17, 2, v19
	ds_write_b32 v1, v6
	s_waitcnt vmcnt(0) lgkmcnt(0)
	buffer_gl0_inv
	v_cmp_gt_i32_e32 vcc_lo, s0, v0
	s_and_saveexec_b32 s0, vcc_lo
	s_cbranch_execz .LBB20_79
; %bb.8:
	s_load_dwordx16 s[8:23], s[4:5], 0x8
	v_lshlrev_b32_e32 v0, 2, v0
	v_lshlrev_b32_e32 v20, 2, v10
	s_mov_b32 s0, exec_lo
	s_waitcnt lgkmcnt(0)
	global_load_dword v6, v0, s[18:19]
	s_waitcnt vmcnt(0)
	v_ashrrev_i32_e32 v7, 31, v6
	v_lshlrev_b64 v[0:1], 2, v[6:7]
	v_add_co_u32 v7, vcc_lo, s8, v0
	v_add_co_ci_u32_e64 v8, null, s9, v1, vcc_lo
	v_add_co_u32 v11, vcc_lo, s14, v0
	v_add_co_ci_u32_e64 v12, null, s15, v1, vcc_lo
	global_load_dwordx2 v[8:9], v[7:8], off
	global_load_dword v7, v[11:12], off
	s_waitcnt vmcnt(1)
	v_subrev_nc_u32_e32 v8, s2, v8
	v_subrev_nc_u32_e32 v11, s2, v9
	v_add_nc_u32_e32 v9, v8, v17
	v_cmpx_lt_i32_e64 v9, v11
	s_cbranch_execz .LBB20_31
; %bb.9:
	v_mov_b32_e32 v12, -1
	s_mov_b32 s1, 0
	s_branch .LBB20_11
.LBB20_10:                              ;   in Loop: Header=BB20_11 Depth=1
	s_or_b32 exec_lo, exec_lo, s6
	v_add_nc_u32_e32 v9, 64, v9
	v_cmp_ge_i32_e32 vcc_lo, v9, v11
	s_or_b32 s1, vcc_lo, s1
	s_andn2_b32 exec_lo, exec_lo, s1
	s_cbranch_execz .LBB20_31
.LBB20_11:                              ; =>This Loop Header: Depth=1
                                        ;     Child Loop BB20_20 Depth 2
	v_ashrrev_i32_e32 v10, 31, v9
	s_mov_b32 s6, 0
                                        ; implicit-def: $sgpr7
                                        ; implicit-def: $sgpr18
                                        ; implicit-def: $sgpr19
	v_lshlrev_b64 v[13:14], 2, v[9:10]
	v_add_co_u32 v13, vcc_lo, s10, v13
	v_add_co_ci_u32_e64 v14, null, s11, v14, vcc_lo
	global_load_dword v10, v[13:14], off
	v_mov_b32_e32 v13, 64
	s_waitcnt vmcnt(0)
	v_mul_lo_u32 v15, v10, 39
	s_branch .LBB20_20
.LBB20_12:                              ;   in Loop: Header=BB20_20 Depth=2
	s_or_b32 exec_lo, exec_lo, s36
	s_orn2_b32 s34, s34, exec_lo
	s_orn2_b32 s35, s35, exec_lo
.LBB20_13:                              ;   in Loop: Header=BB20_20 Depth=2
	s_or_b32 exec_lo, exec_lo, s33
	s_and_b32 s34, s34, exec_lo
	s_orn2_b32 s33, s35, exec_lo
.LBB20_14:                              ;   in Loop: Header=BB20_20 Depth=2
	s_or_b32 exec_lo, exec_lo, s31
	s_orn2_b32 s31, s34, exec_lo
	s_orn2_b32 s33, s33, exec_lo
.LBB20_15:                              ;   in Loop: Header=BB20_20 Depth=2
	s_or_b32 exec_lo, exec_lo, s30
	s_and_b32 s31, s31, exec_lo
	s_orn2_b32 s30, s33, exec_lo
.LBB20_16:                              ;   in Loop: Header=BB20_20 Depth=2
	s_or_b32 exec_lo, exec_lo, s29
	s_orn2_b32 s29, s31, exec_lo
	s_orn2_b32 s30, s30, exec_lo
.LBB20_17:                              ;   in Loop: Header=BB20_20 Depth=2
	s_or_b32 exec_lo, exec_lo, s28
	s_and_b32 s29, s29, exec_lo
	s_orn2_b32 s28, s30, exec_lo
.LBB20_18:                              ;   in Loop: Header=BB20_20 Depth=2
	s_or_b32 exec_lo, exec_lo, s27
	s_andn2_b32 s19, s19, exec_lo
	s_and_b32 s27, s29, exec_lo
	s_andn2_b32 s18, s18, exec_lo
	s_and_b32 s28, s28, exec_lo
	s_or_b32 s19, s19, s27
	s_or_b32 s18, s18, s28
.LBB20_19:                              ;   in Loop: Header=BB20_20 Depth=2
	s_or_b32 exec_lo, exec_lo, s26
	s_and_b32 s26, exec_lo, s18
	s_or_b32 s6, s26, s6
	s_andn2_b32 s7, s7, exec_lo
	s_and_b32 s26, s19, exec_lo
	s_or_b32 s7, s7, s26
	s_andn2_b32 exec_lo, exec_lo, s6
	s_cbranch_execz .LBB20_29
.LBB20_20:                              ;   Parent Loop BB20_11 Depth=1
                                        ; =>  This Inner Loop Header: Depth=2
	v_and_b32_e32 v14, 63, v15
	s_or_b32 s19, s19, exec_lo
	s_or_b32 s18, s18, exec_lo
	s_mov_b32 s26, exec_lo
	v_lshl_add_u32 v16, v14, 2, v19
	ds_read_b32 v21, v16
	s_waitcnt lgkmcnt(0)
	v_cmpx_ne_u32_e64 v21, v10
	s_cbranch_execz .LBB20_19
; %bb.21:                               ;   in Loop: Header=BB20_20 Depth=2
	ds_cmpst_rtn_b32 v16, v16, v12, v10
	s_mov_b32 s28, -1
	s_mov_b32 s29, 0
	s_mov_b32 s27, exec_lo
	s_waitcnt lgkmcnt(0)
	v_cmpx_ne_u32_e32 -1, v16
	s_cbranch_execz .LBB20_18
; %bb.22:                               ;   in Loop: Header=BB20_20 Depth=2
	v_add_nc_u32_e32 v14, 1, v15
	s_mov_b32 s30, -1
	s_mov_b32 s29, -1
	s_mov_b32 s28, exec_lo
	v_and_b32_e32 v14, 63, v14
	v_lshl_add_u32 v16, v14, 2, v19
	ds_read_b32 v21, v16
	s_waitcnt lgkmcnt(0)
	v_cmpx_ne_u32_e64 v21, v10
	s_cbranch_execz .LBB20_17
; %bb.23:                               ;   in Loop: Header=BB20_20 Depth=2
	ds_cmpst_rtn_b32 v16, v16, v12, v10
	s_mov_b32 s31, 0
	s_mov_b32 s29, exec_lo
	s_waitcnt lgkmcnt(0)
	v_cmpx_ne_u32_e32 -1, v16
	s_cbranch_execz .LBB20_16
; %bb.24:                               ;   in Loop: Header=BB20_20 Depth=2
	v_add_nc_u32_e32 v14, 2, v15
	s_mov_b32 s33, -1
	s_mov_b32 s31, -1
	s_mov_b32 s30, exec_lo
	v_and_b32_e32 v14, 63, v14
	v_lshl_add_u32 v16, v14, 2, v19
	ds_read_b32 v21, v16
	s_waitcnt lgkmcnt(0)
	v_cmpx_ne_u32_e64 v21, v10
	s_cbranch_execz .LBB20_15
; %bb.25:                               ;   in Loop: Header=BB20_20 Depth=2
	ds_cmpst_rtn_b32 v16, v16, v12, v10
	s_mov_b32 s34, 0
	s_mov_b32 s31, exec_lo
	s_waitcnt lgkmcnt(0)
	v_cmpx_ne_u32_e32 -1, v16
	s_cbranch_execz .LBB20_14
; %bb.26:                               ;   in Loop: Header=BB20_20 Depth=2
	v_add_nc_u32_e32 v14, 3, v15
	s_mov_b32 s35, -1
	s_mov_b32 s34, -1
	v_and_b32_e32 v14, 63, v14
	v_lshl_add_u32 v16, v14, 2, v19
	ds_read_b32 v15, v16
	s_waitcnt lgkmcnt(0)
	v_cmp_ne_u32_e32 vcc_lo, v15, v10
                                        ; implicit-def: $vgpr15
	s_and_saveexec_b32 s33, vcc_lo
	s_cbranch_execz .LBB20_13
; %bb.27:                               ;   in Loop: Header=BB20_20 Depth=2
	ds_cmpst_rtn_b32 v15, v16, v12, v10
	s_mov_b32 s34, 0
	s_waitcnt lgkmcnt(0)
	v_cmp_ne_u32_e32 vcc_lo, -1, v15
                                        ; implicit-def: $vgpr15
	s_and_saveexec_b32 s36, vcc_lo
	s_cbranch_execz .LBB20_12
; %bb.28:                               ;   in Loop: Header=BB20_20 Depth=2
	v_add_nc_u32_e32 v13, -4, v13
	v_add_nc_u32_e32 v15, 1, v14
	s_mov_b32 s34, exec_lo
	v_cmp_eq_u32_e32 vcc_lo, 0, v13
	s_orn2_b32 s35, vcc_lo, exec_lo
	s_branch .LBB20_12
.LBB20_29:                              ;   in Loop: Header=BB20_11 Depth=1
	s_or_b32 exec_lo, exec_lo, s6
	s_xor_b32 s6, s7, -1
	s_and_saveexec_b32 s7, s6
	s_xor_b32 s6, exec_lo, s7
	s_cbranch_execz .LBB20_10
; %bb.30:                               ;   in Loop: Header=BB20_11 Depth=1
	v_lshl_add_u32 v10, v14, 2, v20
	ds_write_b32 v10, v9
	s_branch .LBB20_10
.LBB20_31:
	s_or_b32 exec_lo, exec_lo, s0
	s_mov_b32 s0, exec_lo
	s_waitcnt vmcnt(0) lgkmcnt(0)
	buffer_gl0_inv
	v_cmpx_lt_i32_e64 v8, v7
	s_cbranch_execz .LBB20_61
; %bb.32:
	v_add_nc_u32_e32 v21, 1, v17
	s_mov_b32 s1, 0
	s_branch .LBB20_35
.LBB20_33:                              ;   in Loop: Header=BB20_35 Depth=1
	s_or_b32 exec_lo, exec_lo, s7
	v_add_nc_u32_e32 v8, 1, v8
	v_cmp_ge_i32_e32 vcc_lo, v8, v7
	s_orn2_b32 s7, vcc_lo, exec_lo
.LBB20_34:                              ;   in Loop: Header=BB20_35 Depth=1
	s_or_b32 exec_lo, exec_lo, s6
	s_and_b32 s6, exec_lo, s7
	s_or_b32 s1, s6, s1
	s_andn2_b32 exec_lo, exec_lo, s1
	s_cbranch_execz .LBB20_61
.LBB20_35:                              ; =>This Loop Header: Depth=1
                                        ;     Child Loop BB20_36 Depth 2
                                        ;     Child Loop BB20_41 Depth 2
                                        ;       Child Loop BB20_50 Depth 3
	v_ashrrev_i32_e32 v9, 31, v8
	s_mov_b32 s6, 0
	v_lshlrev_b64 v[10:11], 2, v[8:9]
	v_lshlrev_b64 v[12:13], 3, v[8:9]
	v_add_co_u32 v10, vcc_lo, s10, v10
	v_add_co_ci_u32_e64 v11, null, s11, v11, vcc_lo
	v_add_co_u32 v12, vcc_lo, s12, v12
	v_add_co_ci_u32_e64 v13, null, s13, v13, vcc_lo
	global_load_dword v10, v[10:11], off
	s_waitcnt vmcnt(0)
	v_subrev_nc_u32_e32 v10, s2, v10
	v_ashrrev_i32_e32 v11, 31, v10
	v_lshlrev_b64 v[14:15], 2, v[10:11]
	v_add_co_u32 v22, vcc_lo, s8, v14
	v_add_co_ci_u32_e64 v23, null, s9, v15, vcc_lo
	v_add_co_u32 v24, vcc_lo, s14, v14
	v_add_co_ci_u32_e64 v25, null, s15, v15, vcc_lo
	global_load_dwordx2 v[9:10], v[12:13], off
	global_load_dword v11, v[22:23], off offset:4
	global_load_dword v16, v[24:25], off
	v_add_co_u32 v14, vcc_lo, s16, v14
	v_add_co_ci_u32_e64 v15, null, s17, v15, vcc_lo
.LBB20_36:                              ;   Parent Loop BB20_35 Depth=1
                                        ; =>  This Inner Loop Header: Depth=2
	global_load_dword v22, v[14:15], off glc dlc
	s_waitcnt vmcnt(0)
	v_cmp_ne_u32_e32 vcc_lo, 0, v22
	s_or_b32 s6, vcc_lo, s6
	s_andn2_b32 exec_lo, exec_lo, s6
	s_cbranch_execnz .LBB20_36
; %bb.37:                               ;   in Loop: Header=BB20_35 Depth=1
	s_or_b32 exec_lo, exec_lo, s6
	v_subrev_nc_u32_e32 v22, s2, v11
	v_cmp_eq_u32_e32 vcc_lo, -1, v16
	buffer_gl1_inv
	buffer_gl0_inv
	s_mov_b32 s7, -1
	s_mov_b32 s6, exec_lo
	v_add_nc_u32_e32 v11, -1, v22
	v_cndmask_b32_e32 v14, v16, v11, vcc_lo
	v_ashrrev_i32_e32 v15, 31, v14
	v_lshlrev_b64 v[15:16], 3, v[14:15]
	v_add_co_u32 v15, vcc_lo, s12, v15
	v_add_co_ci_u32_e64 v16, null, s13, v16, vcc_lo
	global_load_dwordx2 v[15:16], v[15:16], off
	s_waitcnt vmcnt(0)
	v_cmpx_neq_f64_e32 0, v[15:16]
	s_cbranch_execz .LBB20_34
; %bb.38:                               ;   in Loop: Header=BB20_35 Depth=1
	v_div_scale_f64 v[23:24], null, v[15:16], v[15:16], v[9:10]
	v_add_nc_u32_e32 v11, v21, v14
	s_mov_b32 s7, exec_lo
	v_rcp_f64_e32 v[25:26], v[23:24]
	v_fma_f64 v[27:28], -v[23:24], v[25:26], 1.0
	v_fma_f64 v[25:26], v[25:26], v[27:28], v[25:26]
	v_fma_f64 v[27:28], -v[23:24], v[25:26], 1.0
	v_fma_f64 v[25:26], v[25:26], v[27:28], v[25:26]
	v_div_scale_f64 v[27:28], vcc_lo, v[9:10], v[15:16], v[9:10]
	v_mul_f64 v[29:30], v[27:28], v[25:26]
	v_fma_f64 v[23:24], -v[23:24], v[29:30], v[27:28]
	v_div_fmas_f64 v[23:24], v[23:24], v[25:26], v[29:30]
	v_div_fixup_f64 v[9:10], v[23:24], v[15:16], v[9:10]
	global_store_dwordx2 v[12:13], v[9:10], off
	v_cmpx_lt_i32_e64 v11, v22
	s_cbranch_execz .LBB20_33
; %bb.39:                               ;   in Loop: Header=BB20_35 Depth=1
	s_mov_b32 s18, 0
	s_branch .LBB20_41
.LBB20_40:                              ;   in Loop: Header=BB20_41 Depth=2
	s_or_b32 exec_lo, exec_lo, s19
	v_add_nc_u32_e32 v11, 64, v11
	v_cmp_ge_i32_e32 vcc_lo, v11, v22
	s_or_b32 s18, vcc_lo, s18
	s_andn2_b32 exec_lo, exec_lo, s18
	s_cbranch_execz .LBB20_33
.LBB20_41:                              ;   Parent Loop BB20_35 Depth=1
                                        ; =>  This Loop Header: Depth=2
                                        ;       Child Loop BB20_50 Depth 3
	v_ashrrev_i32_e32 v12, 31, v11
	s_mov_b32 s19, 0
                                        ; implicit-def: $sgpr26
                                        ; implicit-def: $sgpr27
                                        ; implicit-def: $sgpr28
	v_lshlrev_b64 v[13:14], 2, v[11:12]
	v_add_co_u32 v13, vcc_lo, s10, v13
	v_add_co_ci_u32_e64 v14, null, s11, v14, vcc_lo
	global_load_dword v13, v[13:14], off
	v_mov_b32_e32 v14, 64
	s_waitcnt vmcnt(0)
	v_mul_lo_u32 v16, v13, 39
	s_branch .LBB20_50
.LBB20_42:                              ;   in Loop: Header=BB20_50 Depth=3
	s_or_b32 exec_lo, exec_lo, s39
	s_orn2_b32 s37, s37, exec_lo
	s_orn2_b32 s38, s38, exec_lo
.LBB20_43:                              ;   in Loop: Header=BB20_50 Depth=3
	s_or_b32 exec_lo, exec_lo, s36
	s_and_b32 s37, s37, exec_lo
	s_orn2_b32 s36, s38, exec_lo
.LBB20_44:                              ;   in Loop: Header=BB20_50 Depth=3
	s_or_b32 exec_lo, exec_lo, s35
	s_orn2_b32 s35, s37, exec_lo
	s_orn2_b32 s36, s36, exec_lo
.LBB20_45:                              ;   in Loop: Header=BB20_50 Depth=3
	s_or_b32 exec_lo, exec_lo, s34
	s_and_b32 s35, s35, exec_lo
	s_orn2_b32 s34, s36, exec_lo
.LBB20_46:                              ;   in Loop: Header=BB20_50 Depth=3
	s_or_b32 exec_lo, exec_lo, s33
	s_orn2_b32 s33, s35, exec_lo
	s_orn2_b32 s34, s34, exec_lo
.LBB20_47:                              ;   in Loop: Header=BB20_50 Depth=3
	s_or_b32 exec_lo, exec_lo, s31
	s_and_b32 s33, s33, exec_lo
	s_orn2_b32 s31, s34, exec_lo
.LBB20_48:                              ;   in Loop: Header=BB20_50 Depth=3
	s_or_b32 exec_lo, exec_lo, s30
	s_andn2_b32 s28, s28, exec_lo
	s_and_b32 s30, s33, exec_lo
	s_andn2_b32 s27, s27, exec_lo
	s_and_b32 s31, s31, exec_lo
	s_or_b32 s28, s28, s30
	s_or_b32 s27, s27, s31
.LBB20_49:                              ;   in Loop: Header=BB20_50 Depth=3
	s_or_b32 exec_lo, exec_lo, s29
	s_and_b32 s29, exec_lo, s27
	s_or_b32 s19, s29, s19
	s_andn2_b32 s26, s26, exec_lo
	s_and_b32 s29, s28, exec_lo
	s_or_b32 s26, s26, s29
	s_andn2_b32 exec_lo, exec_lo, s19
	s_cbranch_execz .LBB20_59
.LBB20_50:                              ;   Parent Loop BB20_35 Depth=1
                                        ;     Parent Loop BB20_41 Depth=2
                                        ; =>    This Inner Loop Header: Depth=3
	v_and_b32_e32 v15, 63, v16
	s_or_b32 s28, s28, exec_lo
	s_or_b32 s27, s27, exec_lo
	s_mov_b32 s29, exec_lo
	v_lshl_add_u32 v23, v15, 2, v19
	ds_read_b32 v23, v23
	s_waitcnt lgkmcnt(0)
	v_cmpx_ne_u32_e32 -1, v23
	s_cbranch_execz .LBB20_49
; %bb.51:                               ;   in Loop: Header=BB20_50 Depth=3
	s_mov_b32 s31, -1
	s_mov_b32 s33, 0
	s_mov_b32 s30, exec_lo
	v_cmpx_ne_u32_e64 v23, v13
	s_cbranch_execz .LBB20_48
; %bb.52:                               ;   in Loop: Header=BB20_50 Depth=3
	v_add_nc_u32_e32 v15, 1, v16
	s_mov_b32 s34, -1
	s_mov_b32 s33, -1
	s_mov_b32 s31, exec_lo
	v_and_b32_e32 v15, 63, v15
	v_lshl_add_u32 v23, v15, 2, v19
	ds_read_b32 v23, v23
	s_waitcnt lgkmcnt(0)
	v_cmpx_ne_u32_e32 -1, v23
	s_cbranch_execz .LBB20_47
; %bb.53:                               ;   in Loop: Header=BB20_50 Depth=3
	s_mov_b32 s35, 0
	s_mov_b32 s33, exec_lo
	v_cmpx_ne_u32_e64 v23, v13
	s_cbranch_execz .LBB20_46
; %bb.54:                               ;   in Loop: Header=BB20_50 Depth=3
	v_add_nc_u32_e32 v15, 2, v16
	s_mov_b32 s36, -1
	s_mov_b32 s35, -1
	s_mov_b32 s34, exec_lo
	v_and_b32_e32 v15, 63, v15
	v_lshl_add_u32 v23, v15, 2, v19
	ds_read_b32 v23, v23
	s_waitcnt lgkmcnt(0)
	v_cmpx_ne_u32_e32 -1, v23
	s_cbranch_execz .LBB20_45
; %bb.55:                               ;   in Loop: Header=BB20_50 Depth=3
	s_mov_b32 s37, 0
	s_mov_b32 s35, exec_lo
	v_cmpx_ne_u32_e64 v23, v13
	s_cbranch_execz .LBB20_44
; %bb.56:                               ;   in Loop: Header=BB20_50 Depth=3
	v_add_nc_u32_e32 v15, 3, v16
	s_mov_b32 s38, -1
	s_mov_b32 s37, -1
	s_mov_b32 s36, exec_lo
	v_and_b32_e32 v15, 63, v15
	v_lshl_add_u32 v16, v15, 2, v19
	ds_read_b32 v23, v16
                                        ; implicit-def: $vgpr16
	s_waitcnt lgkmcnt(0)
	v_cmpx_ne_u32_e32 -1, v23
	s_cbranch_execz .LBB20_43
; %bb.57:                               ;   in Loop: Header=BB20_50 Depth=3
	s_mov_b32 s37, 0
	s_mov_b32 s39, exec_lo
                                        ; implicit-def: $vgpr16
	v_cmpx_ne_u32_e64 v23, v13
	s_cbranch_execz .LBB20_42
; %bb.58:                               ;   in Loop: Header=BB20_50 Depth=3
	v_add_nc_u32_e32 v14, -4, v14
	v_add_nc_u32_e32 v16, 1, v15
	s_mov_b32 s37, exec_lo
	v_cmp_eq_u32_e32 vcc_lo, 0, v14
	s_orn2_b32 s38, vcc_lo, exec_lo
	s_branch .LBB20_42
.LBB20_59:                              ;   in Loop: Header=BB20_41 Depth=2
	s_or_b32 exec_lo, exec_lo, s19
	s_xor_b32 s19, s26, -1
	s_and_saveexec_b32 s26, s19
	s_xor_b32 s19, exec_lo, s26
	s_cbranch_execz .LBB20_40
; %bb.60:                               ;   in Loop: Header=BB20_41 Depth=2
	v_lshl_add_u32 v13, v15, 2, v20
	v_lshlrev_b64 v[15:16], 3, v[11:12]
	ds_read_b32 v13, v13
	s_waitcnt lgkmcnt(0)
	v_ashrrev_i32_e32 v14, 31, v13
	v_lshlrev_b64 v[12:13], 3, v[13:14]
	v_add_co_u32 v14, vcc_lo, s12, v15
	v_add_co_ci_u32_e64 v15, null, s13, v16, vcc_lo
	v_add_co_u32 v12, vcc_lo, s12, v12
	v_add_co_ci_u32_e64 v13, null, s13, v13, vcc_lo
	s_clause 0x1
	global_load_dwordx2 v[14:15], v[14:15], off
	global_load_dwordx2 v[23:24], v[12:13], off
	s_waitcnt vmcnt(0)
	v_fma_f64 v[14:15], -v[9:10], v[14:15], v[23:24]
	global_store_dwordx2 v[12:13], v[14:15], off
	s_branch .LBB20_40
.LBB20_61:
	s_or_b32 exec_lo, exec_lo, s0
	s_mov_b32 s6, -1
	s_mov_b32 s1, exec_lo
	s_waitcnt_vscnt null, 0x0
	buffer_gl0_inv
	v_cmpx_lt_i32_e32 -1, v7
	s_cbranch_execz .LBB20_77
; %bb.62:
	v_mov_b32_e32 v8, 0
	v_cmp_eq_u32_e64 s0, 0, v17
	v_lshlrev_b64 v[7:8], 3, v[7:8]
	v_add_co_u32 v11, vcc_lo, s12, v7
	v_add_co_ci_u32_e64 v12, null, s13, v8, vcc_lo
	global_load_dwordx2 v[7:8], v[11:12], off
	s_waitcnt vmcnt(0)
	v_cmp_gt_f64_e32 vcc_lo, 0, v[7:8]
	v_xor_b32_e32 v10, 0x80000000, v8
	v_mov_b32_e32 v9, v7
	v_cndmask_b32_e32 v10, v8, v10, vcc_lo
	s_andn2_b32 vcc_lo, exec_lo, s3
	s_cbranch_vccnz .LBB20_66
; %bb.63:
	v_cvt_f64_f32_e32 v[13:14], v18
	s_cmp_eq_u64 s[24:25], 8
	s_cselect_b32 vcc_lo, -1, 0
	v_cndmask_b32_e32 v3, v14, v3, vcc_lo
	v_cndmask_b32_e32 v2, v13, v2, vcc_lo
	v_cmp_le_f64_e32 vcc_lo, v[9:10], v[2:3]
	s_and_b32 s6, s0, vcc_lo
	s_and_saveexec_b32 s3, s6
	s_cbranch_execz .LBB20_65
; %bb.64:
	global_store_dwordx2 v[11:12], v[4:5], off
	s_waitcnt_vscnt null, 0x0
	buffer_gl1_inv
	buffer_gl0_inv
.LBB20_65:
	s_or_b32 exec_lo, exec_lo, s3
	s_mov_b32 s6, 0
.LBB20_66:
	s_andn2_b32 vcc_lo, exec_lo, s6
	s_cbranch_vccnz .LBB20_77
; %bb.67:
	s_load_dwordx2 s[4:5], s[4:5], 0x48
	v_add_nc_u32_e32 v2, s2, v6
	s_waitcnt lgkmcnt(0)
	v_cmp_ge_f64_e32 vcc_lo, s[4:5], v[9:10]
	s_and_b32 s3, s0, vcc_lo
	s_and_saveexec_b32 s2, s3
	s_cbranch_execz .LBB20_72
; %bb.68:
	s_mov_b32 s4, exec_lo
	s_brev_b32 s3, -2
.LBB20_69:                              ; =>This Inner Loop Header: Depth=1
	s_ff1_i32_b32 s5, s4
	v_readlane_b32 s6, v2, s5
	s_lshl_b32 s5, 1, s5
	s_andn2_b32 s4, s4, s5
	s_min_i32 s3, s3, s6
	s_cmp_lg_u32 s4, 0
	s_cbranch_scc1 .LBB20_69
; %bb.70:
	v_mbcnt_lo_u32_b32 v3, exec_lo, 0
	s_mov_b32 s4, exec_lo
	v_cmpx_eq_u32_e32 0, v3
	s_xor_b32 s4, exec_lo, s4
	s_cbranch_execz .LBB20_72
; %bb.71:
	v_mov_b32_e32 v3, 0
	v_mov_b32_e32 v4, s3
	global_atomic_smin v3, v4, s[22:23]
.LBB20_72:
	s_or_b32 exec_lo, exec_lo, s2
	v_cmp_eq_f64_e32 vcc_lo, 0, v[7:8]
	s_and_b32 s0, s0, vcc_lo
	s_and_b32 exec_lo, exec_lo, s0
	s_cbranch_execz .LBB20_77
; %bb.73:
	s_mov_b32 s2, exec_lo
	s_brev_b32 s0, -2
.LBB20_74:                              ; =>This Inner Loop Header: Depth=1
	s_ff1_i32_b32 s3, s2
	v_readlane_b32 s4, v2, s3
	s_lshl_b32 s3, 1, s3
	s_andn2_b32 s2, s2, s3
	s_min_i32 s0, s0, s4
	s_cmp_lg_u32 s2, 0
	s_cbranch_scc1 .LBB20_74
; %bb.75:
	v_mbcnt_lo_u32_b32 v2, exec_lo, 0
	s_mov_b32 s2, exec_lo
	v_cmpx_eq_u32_e32 0, v2
	s_xor_b32 s2, exec_lo, s2
	s_cbranch_execz .LBB20_77
; %bb.76:
	v_mov_b32_e32 v2, 0
	v_mov_b32_e32 v3, s0
	global_atomic_smin v2, v3, s[20:21]
.LBB20_77:
	s_or_b32 exec_lo, exec_lo, s1
	v_cmp_eq_u32_e32 vcc_lo, 0, v17
	s_waitcnt_vscnt null, 0x0
	buffer_gl1_inv
	buffer_gl0_inv
	s_and_b32 exec_lo, exec_lo, vcc_lo
	s_cbranch_execz .LBB20_79
; %bb.78:
	v_add_co_u32 v0, vcc_lo, s16, v0
	v_add_co_ci_u32_e64 v1, null, s17, v1, vcc_lo
	v_mov_b32_e32 v2, 1
	global_store_dword v[0:1], v2, off
.LBB20_79:
	s_endpgm
	.section	.rodata,"a",@progbits
	.p2align	6, 0x0
	.amdhsa_kernel _ZN9rocsparseL12csrilu0_hashILj256ELj64ELj1EdEEviPKiS2_PT2_S2_PiS2_S5_S5_d21rocsparse_index_base_imNS_24const_host_device_scalarIfEENS7_IdEENS7_IS3_EEb
		.amdhsa_group_segment_fixed_size 2048
		.amdhsa_private_segment_fixed_size 0
		.amdhsa_kernarg_size 124
		.amdhsa_user_sgpr_count 6
		.amdhsa_user_sgpr_private_segment_buffer 1
		.amdhsa_user_sgpr_dispatch_ptr 0
		.amdhsa_user_sgpr_queue_ptr 0
		.amdhsa_user_sgpr_kernarg_segment_ptr 1
		.amdhsa_user_sgpr_dispatch_id 0
		.amdhsa_user_sgpr_flat_scratch_init 0
		.amdhsa_user_sgpr_private_segment_size 0
		.amdhsa_wavefront_size32 1
		.amdhsa_uses_dynamic_stack 0
		.amdhsa_system_sgpr_private_segment_wavefront_offset 0
		.amdhsa_system_sgpr_workgroup_id_x 1
		.amdhsa_system_sgpr_workgroup_id_y 0
		.amdhsa_system_sgpr_workgroup_id_z 0
		.amdhsa_system_sgpr_workgroup_info 0
		.amdhsa_system_vgpr_workitem_id 0
		.amdhsa_next_free_vgpr 31
		.amdhsa_next_free_sgpr 40
		.amdhsa_reserve_vcc 1
		.amdhsa_reserve_flat_scratch 0
		.amdhsa_float_round_mode_32 0
		.amdhsa_float_round_mode_16_64 0
		.amdhsa_float_denorm_mode_32 3
		.amdhsa_float_denorm_mode_16_64 3
		.amdhsa_dx10_clamp 1
		.amdhsa_ieee_mode 1
		.amdhsa_fp16_overflow 0
		.amdhsa_workgroup_processor_mode 1
		.amdhsa_memory_ordered 1
		.amdhsa_forward_progress 1
		.amdhsa_shared_vgpr_count 0
		.amdhsa_exception_fp_ieee_invalid_op 0
		.amdhsa_exception_fp_denorm_src 0
		.amdhsa_exception_fp_ieee_div_zero 0
		.amdhsa_exception_fp_ieee_overflow 0
		.amdhsa_exception_fp_ieee_underflow 0
		.amdhsa_exception_fp_ieee_inexact 0
		.amdhsa_exception_int_div_zero 0
	.end_amdhsa_kernel
	.section	.text._ZN9rocsparseL12csrilu0_hashILj256ELj64ELj1EdEEviPKiS2_PT2_S2_PiS2_S5_S5_d21rocsparse_index_base_imNS_24const_host_device_scalarIfEENS7_IdEENS7_IS3_EEb,"axG",@progbits,_ZN9rocsparseL12csrilu0_hashILj256ELj64ELj1EdEEviPKiS2_PT2_S2_PiS2_S5_S5_d21rocsparse_index_base_imNS_24const_host_device_scalarIfEENS7_IdEENS7_IS3_EEb,comdat
.Lfunc_end20:
	.size	_ZN9rocsparseL12csrilu0_hashILj256ELj64ELj1EdEEviPKiS2_PT2_S2_PiS2_S5_S5_d21rocsparse_index_base_imNS_24const_host_device_scalarIfEENS7_IdEENS7_IS3_EEb, .Lfunc_end20-_ZN9rocsparseL12csrilu0_hashILj256ELj64ELj1EdEEviPKiS2_PT2_S2_PiS2_S5_S5_d21rocsparse_index_base_imNS_24const_host_device_scalarIfEENS7_IdEENS7_IS3_EEb
                                        ; -- End function
	.set _ZN9rocsparseL12csrilu0_hashILj256ELj64ELj1EdEEviPKiS2_PT2_S2_PiS2_S5_S5_d21rocsparse_index_base_imNS_24const_host_device_scalarIfEENS7_IdEENS7_IS3_EEb.num_vgpr, 31
	.set _ZN9rocsparseL12csrilu0_hashILj256ELj64ELj1EdEEviPKiS2_PT2_S2_PiS2_S5_S5_d21rocsparse_index_base_imNS_24const_host_device_scalarIfEENS7_IdEENS7_IS3_EEb.num_agpr, 0
	.set _ZN9rocsparseL12csrilu0_hashILj256ELj64ELj1EdEEviPKiS2_PT2_S2_PiS2_S5_S5_d21rocsparse_index_base_imNS_24const_host_device_scalarIfEENS7_IdEENS7_IS3_EEb.numbered_sgpr, 40
	.set _ZN9rocsparseL12csrilu0_hashILj256ELj64ELj1EdEEviPKiS2_PT2_S2_PiS2_S5_S5_d21rocsparse_index_base_imNS_24const_host_device_scalarIfEENS7_IdEENS7_IS3_EEb.num_named_barrier, 0
	.set _ZN9rocsparseL12csrilu0_hashILj256ELj64ELj1EdEEviPKiS2_PT2_S2_PiS2_S5_S5_d21rocsparse_index_base_imNS_24const_host_device_scalarIfEENS7_IdEENS7_IS3_EEb.private_seg_size, 0
	.set _ZN9rocsparseL12csrilu0_hashILj256ELj64ELj1EdEEviPKiS2_PT2_S2_PiS2_S5_S5_d21rocsparse_index_base_imNS_24const_host_device_scalarIfEENS7_IdEENS7_IS3_EEb.uses_vcc, 1
	.set _ZN9rocsparseL12csrilu0_hashILj256ELj64ELj1EdEEviPKiS2_PT2_S2_PiS2_S5_S5_d21rocsparse_index_base_imNS_24const_host_device_scalarIfEENS7_IdEENS7_IS3_EEb.uses_flat_scratch, 0
	.set _ZN9rocsparseL12csrilu0_hashILj256ELj64ELj1EdEEviPKiS2_PT2_S2_PiS2_S5_S5_d21rocsparse_index_base_imNS_24const_host_device_scalarIfEENS7_IdEENS7_IS3_EEb.has_dyn_sized_stack, 0
	.set _ZN9rocsparseL12csrilu0_hashILj256ELj64ELj1EdEEviPKiS2_PT2_S2_PiS2_S5_S5_d21rocsparse_index_base_imNS_24const_host_device_scalarIfEENS7_IdEENS7_IS3_EEb.has_recursion, 0
	.set _ZN9rocsparseL12csrilu0_hashILj256ELj64ELj1EdEEviPKiS2_PT2_S2_PiS2_S5_S5_d21rocsparse_index_base_imNS_24const_host_device_scalarIfEENS7_IdEENS7_IS3_EEb.has_indirect_call, 0
	.section	.AMDGPU.csdata,"",@progbits
; Kernel info:
; codeLenInByte = 2620
; TotalNumSgprs: 42
; NumVgprs: 31
; ScratchSize: 0
; MemoryBound: 0
; FloatMode: 240
; IeeeMode: 1
; LDSByteSize: 2048 bytes/workgroup (compile time only)
; SGPRBlocks: 0
; VGPRBlocks: 3
; NumSGPRsForWavesPerEU: 42
; NumVGPRsForWavesPerEU: 31
; Occupancy: 16
; WaveLimiterHint : 1
; COMPUTE_PGM_RSRC2:SCRATCH_EN: 0
; COMPUTE_PGM_RSRC2:USER_SGPR: 6
; COMPUTE_PGM_RSRC2:TRAP_HANDLER: 0
; COMPUTE_PGM_RSRC2:TGID_X_EN: 1
; COMPUTE_PGM_RSRC2:TGID_Y_EN: 0
; COMPUTE_PGM_RSRC2:TGID_Z_EN: 0
; COMPUTE_PGM_RSRC2:TIDIG_COMP_CNT: 0
	.section	.text._ZN9rocsparseL12csrilu0_hashILj256ELj64ELj2EdEEviPKiS2_PT2_S2_PiS2_S5_S5_d21rocsparse_index_base_imNS_24const_host_device_scalarIfEENS7_IdEENS7_IS3_EEb,"axG",@progbits,_ZN9rocsparseL12csrilu0_hashILj256ELj64ELj2EdEEviPKiS2_PT2_S2_PiS2_S5_S5_d21rocsparse_index_base_imNS_24const_host_device_scalarIfEENS7_IdEENS7_IS3_EEb,comdat
	.globl	_ZN9rocsparseL12csrilu0_hashILj256ELj64ELj2EdEEviPKiS2_PT2_S2_PiS2_S5_S5_d21rocsparse_index_base_imNS_24const_host_device_scalarIfEENS7_IdEENS7_IS3_EEb ; -- Begin function _ZN9rocsparseL12csrilu0_hashILj256ELj64ELj2EdEEviPKiS2_PT2_S2_PiS2_S5_S5_d21rocsparse_index_base_imNS_24const_host_device_scalarIfEENS7_IdEENS7_IS3_EEb
	.p2align	8
	.type	_ZN9rocsparseL12csrilu0_hashILj256ELj64ELj2EdEEviPKiS2_PT2_S2_PiS2_S5_S5_d21rocsparse_index_base_imNS_24const_host_device_scalarIfEENS7_IdEENS7_IS3_EEb,@function
_ZN9rocsparseL12csrilu0_hashILj256ELj64ELj2EdEEviPKiS2_PT2_S2_PiS2_S5_S5_d21rocsparse_index_base_imNS_24const_host_device_scalarIfEENS7_IdEENS7_IS3_EEb: ; @_ZN9rocsparseL12csrilu0_hashILj256ELj64ELj2EdEEviPKiS2_PT2_S2_PiS2_S5_S5_d21rocsparse_index_base_imNS_24const_host_device_scalarIfEENS7_IdEENS7_IS3_EEb
; %bb.0:
	s_clause 0x2
	s_load_dword s0, s[4:5], 0x78
	s_load_dwordx2 s[2:3], s[4:5], 0x50
	s_load_dwordx8 s[24:31], s[4:5], 0x58
	s_waitcnt lgkmcnt(0)
	s_bitcmp1_b32 s0, 0
	s_cselect_b32 s0, -1, 0
	s_cmp_eq_u32 s3, 0
	s_cselect_b32 s7, -1, 0
	s_cmp_lg_u32 s3, 0
	s_cselect_b32 s3, -1, 0
	s_or_b32 s9, s7, s0
	s_xor_b32 s8, s9, -1
	s_and_b32 s0, s7, exec_lo
	s_cselect_b32 s1, 0, s29
	s_cselect_b32 s0, 0, s28
	s_and_b32 vcc_lo, exec_lo, s9
	s_cbranch_vccnz .LBB21_2
; %bb.1:
	s_load_dword s0, s[26:27], 0x0
	s_waitcnt lgkmcnt(0)
	v_mov_b32_e32 v19, s0
	s_mov_b64 s[0:1], s[28:29]
	s_branch .LBB21_3
.LBB21_2:
	v_cndmask_b32_e64 v19, s26, 0, s7
.LBB21_3:
	v_mov_b32_e32 v4, s1
	v_cndmask_b32_e64 v1, 0, 1, s8
	v_mov_b32_e32 v3, s0
	s_andn2_b32 vcc_lo, exec_lo, s8
	s_cbranch_vccnz .LBB21_5
; %bb.4:
	v_mov_b32_e32 v2, s28
	v_mov_b32_e32 v3, s29
	flat_load_dwordx2 v[3:4], v[2:3]
.LBB21_5:
	s_and_b32 s0, s7, exec_lo
	s_cselect_b32 s1, 0, s31
	v_cmp_ne_u32_e32 vcc_lo, 1, v1
	s_cselect_b32 s0, 0, s30
	v_mov_b32_e32 v6, s1
	v_mov_b32_e32 v5, s0
	s_mov_b32 s0, 0
	s_cbranch_vccnz .LBB21_7
; %bb.6:
	v_mov_b32_e32 v1, s30
	v_mov_b32_e32 v2, s31
	flat_load_dwordx2 v[5:6], v[1:2]
.LBB21_7:
	v_lshrrev_b32_e32 v1, 6, v0
	v_and_b32_e32 v18, 63, v0
	v_lshlrev_b32_e32 v7, 9, v1
	v_lshlrev_b32_e32 v8, 2, v18
	v_or_b32_e32 v2, 0xffffffc0, v18
	v_or3_b32 v7, v7, v8, 0x800
	v_mov_b32_e32 v8, -1
.LBB21_8:                               ; =>This Inner Loop Header: Depth=1
	v_add_co_u32 v2, s1, v2, 64
	s_xor_b32 s1, s1, -1
	ds_write_b32 v7, v8
	v_add_nc_u32_e32 v7, 0x100, v7
	s_and_b32 s1, exec_lo, s1
	s_or_b32 s0, s1, s0
	s_andn2_b32 exec_lo, exec_lo, s0
	s_cbranch_execnz .LBB21_8
; %bb.9:
	s_or_b32 exec_lo, exec_lo, s0
	s_load_dword s0, s[4:5], 0x0
	s_lshl_b32 s1, s6, 2
	s_waitcnt vmcnt(0) lgkmcnt(0)
	buffer_gl0_inv
	v_and_or_b32 v1, 0x3fffffc, s1, v1
	v_cmp_gt_i32_e32 vcc_lo, s0, v1
	s_and_saveexec_b32 s0, vcc_lo
	s_cbranch_execz .LBB21_81
; %bb.10:
	s_load_dwordx16 s[8:23], s[4:5], 0x8
	v_lshlrev_b32_e32 v1, 2, v1
	v_lshlrev_b32_e32 v0, 3, v0
	s_mov_b32 s0, exec_lo
	v_and_b32_e32 v0, 0x600, v0
	v_or_b32_e32 v20, 0x800, v0
	s_waitcnt lgkmcnt(0)
	global_load_dword v7, v1, s[18:19]
	s_waitcnt vmcnt(0)
	v_ashrrev_i32_e32 v8, 31, v7
	v_lshlrev_b64 v[1:2], 2, v[7:8]
	v_add_co_u32 v8, vcc_lo, s8, v1
	v_add_co_ci_u32_e64 v9, null, s9, v2, vcc_lo
	v_add_co_u32 v11, vcc_lo, s14, v1
	v_add_co_ci_u32_e64 v12, null, s15, v2, vcc_lo
	global_load_dwordx2 v[9:10], v[8:9], off
	global_load_dword v8, v[11:12], off
	s_waitcnt vmcnt(1)
	v_subrev_nc_u32_e32 v9, s2, v9
	v_subrev_nc_u32_e32 v12, s2, v10
	v_add_nc_u32_e32 v10, v9, v18
	v_cmpx_lt_i32_e64 v10, v12
	s_cbranch_execz .LBB21_33
; %bb.11:
	v_mov_b32_e32 v13, -1
	s_mov_b32 s1, 0
	s_branch .LBB21_13
.LBB21_12:                              ;   in Loop: Header=BB21_13 Depth=1
	s_or_b32 exec_lo, exec_lo, s6
	v_add_nc_u32_e32 v10, 64, v10
	v_cmp_ge_i32_e32 vcc_lo, v10, v12
	s_or_b32 s1, vcc_lo, s1
	s_andn2_b32 exec_lo, exec_lo, s1
	s_cbranch_execz .LBB21_33
.LBB21_13:                              ; =>This Loop Header: Depth=1
                                        ;     Child Loop BB21_22 Depth 2
	v_ashrrev_i32_e32 v11, 31, v10
	s_mov_b32 s6, 0
                                        ; implicit-def: $sgpr7
                                        ; implicit-def: $sgpr18
                                        ; implicit-def: $sgpr19
	v_lshlrev_b64 v[14:15], 2, v[10:11]
	v_add_co_u32 v14, vcc_lo, s10, v14
	v_add_co_ci_u32_e64 v15, null, s11, v15, vcc_lo
	global_load_dword v11, v[14:15], off
	v_mov_b32_e32 v14, 0x80
	s_waitcnt vmcnt(0)
	v_mul_lo_u32 v16, 0x67, v11
	s_branch .LBB21_22
.LBB21_14:                              ;   in Loop: Header=BB21_22 Depth=2
	s_or_b32 exec_lo, exec_lo, s36
	s_orn2_b32 s34, s34, exec_lo
	s_orn2_b32 s35, s35, exec_lo
.LBB21_15:                              ;   in Loop: Header=BB21_22 Depth=2
	s_or_b32 exec_lo, exec_lo, s33
	s_and_b32 s34, s34, exec_lo
	s_orn2_b32 s33, s35, exec_lo
.LBB21_16:                              ;   in Loop: Header=BB21_22 Depth=2
	s_or_b32 exec_lo, exec_lo, s31
	s_orn2_b32 s31, s34, exec_lo
	s_orn2_b32 s33, s33, exec_lo
.LBB21_17:                              ;   in Loop: Header=BB21_22 Depth=2
	s_or_b32 exec_lo, exec_lo, s30
	s_and_b32 s31, s31, exec_lo
	s_orn2_b32 s30, s33, exec_lo
.LBB21_18:                              ;   in Loop: Header=BB21_22 Depth=2
	s_or_b32 exec_lo, exec_lo, s29
	s_orn2_b32 s29, s31, exec_lo
	s_orn2_b32 s30, s30, exec_lo
.LBB21_19:                              ;   in Loop: Header=BB21_22 Depth=2
	s_or_b32 exec_lo, exec_lo, s28
	s_and_b32 s29, s29, exec_lo
	s_orn2_b32 s28, s30, exec_lo
.LBB21_20:                              ;   in Loop: Header=BB21_22 Depth=2
	s_or_b32 exec_lo, exec_lo, s27
	s_andn2_b32 s19, s19, exec_lo
	s_and_b32 s27, s29, exec_lo
	s_andn2_b32 s18, s18, exec_lo
	s_and_b32 s28, s28, exec_lo
	s_or_b32 s19, s19, s27
	s_or_b32 s18, s18, s28
.LBB21_21:                              ;   in Loop: Header=BB21_22 Depth=2
	s_or_b32 exec_lo, exec_lo, s26
	s_and_b32 s26, exec_lo, s18
	s_or_b32 s6, s26, s6
	s_andn2_b32 s7, s7, exec_lo
	s_and_b32 s26, s19, exec_lo
	s_or_b32 s7, s7, s26
	s_andn2_b32 exec_lo, exec_lo, s6
	s_cbranch_execz .LBB21_31
.LBB21_22:                              ;   Parent Loop BB21_13 Depth=1
                                        ; =>  This Inner Loop Header: Depth=2
	v_and_b32_e32 v15, 0x7f, v16
	s_or_b32 s19, s19, exec_lo
	s_or_b32 s18, s18, exec_lo
	s_mov_b32 s26, exec_lo
	v_lshl_add_u32 v17, v15, 2, v20
	ds_read_b32 v21, v17
	s_waitcnt lgkmcnt(0)
	v_cmpx_ne_u32_e64 v21, v11
	s_cbranch_execz .LBB21_21
; %bb.23:                               ;   in Loop: Header=BB21_22 Depth=2
	ds_cmpst_rtn_b32 v17, v17, v13, v11
	s_mov_b32 s28, -1
	s_mov_b32 s29, 0
	s_mov_b32 s27, exec_lo
	s_waitcnt lgkmcnt(0)
	v_cmpx_ne_u32_e32 -1, v17
	s_cbranch_execz .LBB21_20
; %bb.24:                               ;   in Loop: Header=BB21_22 Depth=2
	v_add_nc_u32_e32 v15, 1, v16
	s_mov_b32 s30, -1
	s_mov_b32 s29, -1
	s_mov_b32 s28, exec_lo
	v_and_b32_e32 v15, 0x7f, v15
	v_lshl_add_u32 v17, v15, 2, v20
	ds_read_b32 v21, v17
	s_waitcnt lgkmcnt(0)
	v_cmpx_ne_u32_e64 v21, v11
	s_cbranch_execz .LBB21_19
; %bb.25:                               ;   in Loop: Header=BB21_22 Depth=2
	ds_cmpst_rtn_b32 v17, v17, v13, v11
	s_mov_b32 s31, 0
	s_mov_b32 s29, exec_lo
	s_waitcnt lgkmcnt(0)
	v_cmpx_ne_u32_e32 -1, v17
	s_cbranch_execz .LBB21_18
; %bb.26:                               ;   in Loop: Header=BB21_22 Depth=2
	v_add_nc_u32_e32 v15, 2, v16
	s_mov_b32 s33, -1
	s_mov_b32 s31, -1
	s_mov_b32 s30, exec_lo
	v_and_b32_e32 v15, 0x7f, v15
	v_lshl_add_u32 v17, v15, 2, v20
	ds_read_b32 v21, v17
	s_waitcnt lgkmcnt(0)
	v_cmpx_ne_u32_e64 v21, v11
	s_cbranch_execz .LBB21_17
; %bb.27:                               ;   in Loop: Header=BB21_22 Depth=2
	ds_cmpst_rtn_b32 v17, v17, v13, v11
	s_mov_b32 s34, 0
	s_mov_b32 s31, exec_lo
	s_waitcnt lgkmcnt(0)
	v_cmpx_ne_u32_e32 -1, v17
	s_cbranch_execz .LBB21_16
; %bb.28:                               ;   in Loop: Header=BB21_22 Depth=2
	v_add_nc_u32_e32 v15, 3, v16
	s_mov_b32 s35, -1
	s_mov_b32 s34, -1
	v_and_b32_e32 v15, 0x7f, v15
	v_lshl_add_u32 v17, v15, 2, v20
	ds_read_b32 v16, v17
	s_waitcnt lgkmcnt(0)
	v_cmp_ne_u32_e32 vcc_lo, v16, v11
                                        ; implicit-def: $vgpr16
	s_and_saveexec_b32 s33, vcc_lo
	s_cbranch_execz .LBB21_15
; %bb.29:                               ;   in Loop: Header=BB21_22 Depth=2
	ds_cmpst_rtn_b32 v16, v17, v13, v11
	s_mov_b32 s34, 0
	s_waitcnt lgkmcnt(0)
	v_cmp_ne_u32_e32 vcc_lo, -1, v16
                                        ; implicit-def: $vgpr16
	s_and_saveexec_b32 s36, vcc_lo
	s_cbranch_execz .LBB21_14
; %bb.30:                               ;   in Loop: Header=BB21_22 Depth=2
	v_add_nc_u32_e32 v14, -4, v14
	v_add_nc_u32_e32 v16, 1, v15
	s_mov_b32 s34, exec_lo
	v_cmp_eq_u32_e32 vcc_lo, 0, v14
	s_orn2_b32 s35, vcc_lo, exec_lo
	s_branch .LBB21_14
.LBB21_31:                              ;   in Loop: Header=BB21_13 Depth=1
	s_or_b32 exec_lo, exec_lo, s6
	s_xor_b32 s6, s7, -1
	s_and_saveexec_b32 s7, s6
	s_xor_b32 s6, exec_lo, s7
	s_cbranch_execz .LBB21_12
; %bb.32:                               ;   in Loop: Header=BB21_13 Depth=1
	v_lshl_add_u32 v11, v15, 2, v0
	ds_write_b32 v11, v10
	s_branch .LBB21_12
.LBB21_33:
	s_or_b32 exec_lo, exec_lo, s0
	s_mov_b32 s0, exec_lo
	s_waitcnt vmcnt(0) lgkmcnt(0)
	buffer_gl0_inv
	v_cmpx_lt_i32_e64 v9, v8
	s_cbranch_execz .LBB21_63
; %bb.34:
	v_add_nc_u32_e32 v21, 1, v18
	s_mov_b32 s1, 0
	s_branch .LBB21_37
.LBB21_35:                              ;   in Loop: Header=BB21_37 Depth=1
	s_or_b32 exec_lo, exec_lo, s7
	v_add_nc_u32_e32 v9, 1, v9
	v_cmp_ge_i32_e32 vcc_lo, v9, v8
	s_orn2_b32 s7, vcc_lo, exec_lo
.LBB21_36:                              ;   in Loop: Header=BB21_37 Depth=1
	s_or_b32 exec_lo, exec_lo, s6
	s_and_b32 s6, exec_lo, s7
	s_or_b32 s1, s6, s1
	s_andn2_b32 exec_lo, exec_lo, s1
	s_cbranch_execz .LBB21_63
.LBB21_37:                              ; =>This Loop Header: Depth=1
                                        ;     Child Loop BB21_38 Depth 2
                                        ;     Child Loop BB21_43 Depth 2
                                        ;       Child Loop BB21_52 Depth 3
	v_ashrrev_i32_e32 v10, 31, v9
	s_mov_b32 s6, 0
	v_lshlrev_b64 v[11:12], 2, v[9:10]
	v_lshlrev_b64 v[13:14], 3, v[9:10]
	v_add_co_u32 v11, vcc_lo, s10, v11
	v_add_co_ci_u32_e64 v12, null, s11, v12, vcc_lo
	v_add_co_u32 v13, vcc_lo, s12, v13
	v_add_co_ci_u32_e64 v14, null, s13, v14, vcc_lo
	global_load_dword v11, v[11:12], off
	s_waitcnt vmcnt(0)
	v_subrev_nc_u32_e32 v11, s2, v11
	v_ashrrev_i32_e32 v12, 31, v11
	v_lshlrev_b64 v[15:16], 2, v[11:12]
	v_add_co_u32 v22, vcc_lo, s8, v15
	v_add_co_ci_u32_e64 v23, null, s9, v16, vcc_lo
	v_add_co_u32 v24, vcc_lo, s14, v15
	v_add_co_ci_u32_e64 v25, null, s15, v16, vcc_lo
	global_load_dwordx2 v[10:11], v[13:14], off
	global_load_dword v12, v[22:23], off offset:4
	global_load_dword v17, v[24:25], off
	v_add_co_u32 v15, vcc_lo, s16, v15
	v_add_co_ci_u32_e64 v16, null, s17, v16, vcc_lo
.LBB21_38:                              ;   Parent Loop BB21_37 Depth=1
                                        ; =>  This Inner Loop Header: Depth=2
	global_load_dword v22, v[15:16], off glc dlc
	s_waitcnt vmcnt(0)
	v_cmp_ne_u32_e32 vcc_lo, 0, v22
	s_or_b32 s6, vcc_lo, s6
	s_andn2_b32 exec_lo, exec_lo, s6
	s_cbranch_execnz .LBB21_38
; %bb.39:                               ;   in Loop: Header=BB21_37 Depth=1
	s_or_b32 exec_lo, exec_lo, s6
	v_subrev_nc_u32_e32 v22, s2, v12
	v_cmp_eq_u32_e32 vcc_lo, -1, v17
	buffer_gl1_inv
	buffer_gl0_inv
	s_mov_b32 s7, -1
	s_mov_b32 s6, exec_lo
	v_add_nc_u32_e32 v12, -1, v22
	v_cndmask_b32_e32 v15, v17, v12, vcc_lo
	v_ashrrev_i32_e32 v16, 31, v15
	v_lshlrev_b64 v[16:17], 3, v[15:16]
	v_add_co_u32 v16, vcc_lo, s12, v16
	v_add_co_ci_u32_e64 v17, null, s13, v17, vcc_lo
	global_load_dwordx2 v[16:17], v[16:17], off
	s_waitcnt vmcnt(0)
	v_cmpx_neq_f64_e32 0, v[16:17]
	s_cbranch_execz .LBB21_36
; %bb.40:                               ;   in Loop: Header=BB21_37 Depth=1
	v_div_scale_f64 v[23:24], null, v[16:17], v[16:17], v[10:11]
	v_add_nc_u32_e32 v12, v21, v15
	s_mov_b32 s7, exec_lo
	v_rcp_f64_e32 v[25:26], v[23:24]
	v_fma_f64 v[27:28], -v[23:24], v[25:26], 1.0
	v_fma_f64 v[25:26], v[25:26], v[27:28], v[25:26]
	v_fma_f64 v[27:28], -v[23:24], v[25:26], 1.0
	v_fma_f64 v[25:26], v[25:26], v[27:28], v[25:26]
	v_div_scale_f64 v[27:28], vcc_lo, v[10:11], v[16:17], v[10:11]
	v_mul_f64 v[29:30], v[27:28], v[25:26]
	v_fma_f64 v[23:24], -v[23:24], v[29:30], v[27:28]
	v_div_fmas_f64 v[23:24], v[23:24], v[25:26], v[29:30]
	v_div_fixup_f64 v[10:11], v[23:24], v[16:17], v[10:11]
	global_store_dwordx2 v[13:14], v[10:11], off
	v_cmpx_lt_i32_e64 v12, v22
	s_cbranch_execz .LBB21_35
; %bb.41:                               ;   in Loop: Header=BB21_37 Depth=1
	s_mov_b32 s18, 0
	s_branch .LBB21_43
.LBB21_42:                              ;   in Loop: Header=BB21_43 Depth=2
	s_or_b32 exec_lo, exec_lo, s19
	v_add_nc_u32_e32 v12, 64, v12
	v_cmp_ge_i32_e32 vcc_lo, v12, v22
	s_or_b32 s18, vcc_lo, s18
	s_andn2_b32 exec_lo, exec_lo, s18
	s_cbranch_execz .LBB21_35
.LBB21_43:                              ;   Parent Loop BB21_37 Depth=1
                                        ; =>  This Loop Header: Depth=2
                                        ;       Child Loop BB21_52 Depth 3
	v_ashrrev_i32_e32 v13, 31, v12
	s_mov_b32 s19, 0
                                        ; implicit-def: $sgpr26
                                        ; implicit-def: $sgpr27
                                        ; implicit-def: $sgpr28
	v_lshlrev_b64 v[14:15], 2, v[12:13]
	v_add_co_u32 v14, vcc_lo, s10, v14
	v_add_co_ci_u32_e64 v15, null, s11, v15, vcc_lo
	global_load_dword v14, v[14:15], off
	v_mov_b32_e32 v15, 0x80
	s_waitcnt vmcnt(0)
	v_mul_lo_u32 v17, 0x67, v14
	s_branch .LBB21_52
.LBB21_44:                              ;   in Loop: Header=BB21_52 Depth=3
	s_or_b32 exec_lo, exec_lo, s39
	s_orn2_b32 s37, s37, exec_lo
	s_orn2_b32 s38, s38, exec_lo
.LBB21_45:                              ;   in Loop: Header=BB21_52 Depth=3
	s_or_b32 exec_lo, exec_lo, s36
	s_and_b32 s37, s37, exec_lo
	s_orn2_b32 s36, s38, exec_lo
.LBB21_46:                              ;   in Loop: Header=BB21_52 Depth=3
	s_or_b32 exec_lo, exec_lo, s35
	s_orn2_b32 s35, s37, exec_lo
	s_orn2_b32 s36, s36, exec_lo
.LBB21_47:                              ;   in Loop: Header=BB21_52 Depth=3
	s_or_b32 exec_lo, exec_lo, s34
	s_and_b32 s35, s35, exec_lo
	s_orn2_b32 s34, s36, exec_lo
.LBB21_48:                              ;   in Loop: Header=BB21_52 Depth=3
	s_or_b32 exec_lo, exec_lo, s33
	s_orn2_b32 s33, s35, exec_lo
	s_orn2_b32 s34, s34, exec_lo
.LBB21_49:                              ;   in Loop: Header=BB21_52 Depth=3
	s_or_b32 exec_lo, exec_lo, s31
	s_and_b32 s33, s33, exec_lo
	s_orn2_b32 s31, s34, exec_lo
.LBB21_50:                              ;   in Loop: Header=BB21_52 Depth=3
	s_or_b32 exec_lo, exec_lo, s30
	s_andn2_b32 s28, s28, exec_lo
	s_and_b32 s30, s33, exec_lo
	s_andn2_b32 s27, s27, exec_lo
	s_and_b32 s31, s31, exec_lo
	s_or_b32 s28, s28, s30
	s_or_b32 s27, s27, s31
.LBB21_51:                              ;   in Loop: Header=BB21_52 Depth=3
	s_or_b32 exec_lo, exec_lo, s29
	s_and_b32 s29, exec_lo, s27
	s_or_b32 s19, s29, s19
	s_andn2_b32 s26, s26, exec_lo
	s_and_b32 s29, s28, exec_lo
	s_or_b32 s26, s26, s29
	s_andn2_b32 exec_lo, exec_lo, s19
	s_cbranch_execz .LBB21_61
.LBB21_52:                              ;   Parent Loop BB21_37 Depth=1
                                        ;     Parent Loop BB21_43 Depth=2
                                        ; =>    This Inner Loop Header: Depth=3
	v_and_b32_e32 v16, 0x7f, v17
	s_or_b32 s28, s28, exec_lo
	s_or_b32 s27, s27, exec_lo
	s_mov_b32 s29, exec_lo
	v_lshl_add_u32 v23, v16, 2, v20
	ds_read_b32 v23, v23
	s_waitcnt lgkmcnt(0)
	v_cmpx_ne_u32_e32 -1, v23
	s_cbranch_execz .LBB21_51
; %bb.53:                               ;   in Loop: Header=BB21_52 Depth=3
	s_mov_b32 s31, -1
	s_mov_b32 s33, 0
	s_mov_b32 s30, exec_lo
	v_cmpx_ne_u32_e64 v23, v14
	s_cbranch_execz .LBB21_50
; %bb.54:                               ;   in Loop: Header=BB21_52 Depth=3
	v_add_nc_u32_e32 v16, 1, v17
	s_mov_b32 s34, -1
	s_mov_b32 s33, -1
	s_mov_b32 s31, exec_lo
	v_and_b32_e32 v16, 0x7f, v16
	v_lshl_add_u32 v23, v16, 2, v20
	ds_read_b32 v23, v23
	s_waitcnt lgkmcnt(0)
	v_cmpx_ne_u32_e32 -1, v23
	s_cbranch_execz .LBB21_49
; %bb.55:                               ;   in Loop: Header=BB21_52 Depth=3
	s_mov_b32 s35, 0
	s_mov_b32 s33, exec_lo
	v_cmpx_ne_u32_e64 v23, v14
	s_cbranch_execz .LBB21_48
; %bb.56:                               ;   in Loop: Header=BB21_52 Depth=3
	v_add_nc_u32_e32 v16, 2, v17
	s_mov_b32 s36, -1
	s_mov_b32 s35, -1
	s_mov_b32 s34, exec_lo
	v_and_b32_e32 v16, 0x7f, v16
	v_lshl_add_u32 v23, v16, 2, v20
	ds_read_b32 v23, v23
	s_waitcnt lgkmcnt(0)
	v_cmpx_ne_u32_e32 -1, v23
	s_cbranch_execz .LBB21_47
; %bb.57:                               ;   in Loop: Header=BB21_52 Depth=3
	s_mov_b32 s37, 0
	s_mov_b32 s35, exec_lo
	v_cmpx_ne_u32_e64 v23, v14
	s_cbranch_execz .LBB21_46
; %bb.58:                               ;   in Loop: Header=BB21_52 Depth=3
	v_add_nc_u32_e32 v16, 3, v17
	s_mov_b32 s38, -1
	s_mov_b32 s37, -1
	s_mov_b32 s36, exec_lo
	v_and_b32_e32 v16, 0x7f, v16
	v_lshl_add_u32 v17, v16, 2, v20
	ds_read_b32 v23, v17
                                        ; implicit-def: $vgpr17
	s_waitcnt lgkmcnt(0)
	v_cmpx_ne_u32_e32 -1, v23
	s_cbranch_execz .LBB21_45
; %bb.59:                               ;   in Loop: Header=BB21_52 Depth=3
	s_mov_b32 s37, 0
	s_mov_b32 s39, exec_lo
                                        ; implicit-def: $vgpr17
	v_cmpx_ne_u32_e64 v23, v14
	s_cbranch_execz .LBB21_44
; %bb.60:                               ;   in Loop: Header=BB21_52 Depth=3
	v_add_nc_u32_e32 v15, -4, v15
	v_add_nc_u32_e32 v17, 1, v16
	s_mov_b32 s37, exec_lo
	v_cmp_eq_u32_e32 vcc_lo, 0, v15
	s_orn2_b32 s38, vcc_lo, exec_lo
	s_branch .LBB21_44
.LBB21_61:                              ;   in Loop: Header=BB21_43 Depth=2
	s_or_b32 exec_lo, exec_lo, s19
	s_xor_b32 s19, s26, -1
	s_and_saveexec_b32 s26, s19
	s_xor_b32 s19, exec_lo, s26
	s_cbranch_execz .LBB21_42
; %bb.62:                               ;   in Loop: Header=BB21_43 Depth=2
	v_lshl_add_u32 v14, v16, 2, v0
	v_lshlrev_b64 v[16:17], 3, v[12:13]
	ds_read_b32 v14, v14
	s_waitcnt lgkmcnt(0)
	v_ashrrev_i32_e32 v15, 31, v14
	v_lshlrev_b64 v[13:14], 3, v[14:15]
	v_add_co_u32 v15, vcc_lo, s12, v16
	v_add_co_ci_u32_e64 v16, null, s13, v17, vcc_lo
	v_add_co_u32 v13, vcc_lo, s12, v13
	v_add_co_ci_u32_e64 v14, null, s13, v14, vcc_lo
	s_clause 0x1
	global_load_dwordx2 v[15:16], v[15:16], off
	global_load_dwordx2 v[23:24], v[13:14], off
	s_waitcnt vmcnt(0)
	v_fma_f64 v[15:16], -v[10:11], v[15:16], v[23:24]
	global_store_dwordx2 v[13:14], v[15:16], off
	s_branch .LBB21_42
.LBB21_63:
	s_or_b32 exec_lo, exec_lo, s0
	s_mov_b32 s6, -1
	s_mov_b32 s1, exec_lo
	s_waitcnt_vscnt null, 0x0
	buffer_gl0_inv
	v_cmpx_lt_i32_e32 -1, v8
	s_cbranch_execz .LBB21_79
; %bb.64:
	v_mov_b32_e32 v9, 0
	v_cmp_eq_u32_e64 s0, 0, v18
	v_lshlrev_b64 v[8:9], 3, v[8:9]
	v_add_co_u32 v12, vcc_lo, s12, v8
	v_add_co_ci_u32_e64 v13, null, s13, v9, vcc_lo
	global_load_dwordx2 v[8:9], v[12:13], off
	s_waitcnt vmcnt(0)
	v_cmp_gt_f64_e32 vcc_lo, 0, v[8:9]
	v_xor_b32_e32 v0, 0x80000000, v9
	v_mov_b32_e32 v10, v8
	v_cndmask_b32_e32 v11, v9, v0, vcc_lo
	s_andn2_b32 vcc_lo, exec_lo, s3
	s_cbranch_vccnz .LBB21_68
; %bb.65:
	v_cvt_f64_f32_e32 v[14:15], v19
	s_cmp_eq_u64 s[24:25], 8
	s_cselect_b32 vcc_lo, -1, 0
	v_cndmask_b32_e32 v4, v15, v4, vcc_lo
	v_cndmask_b32_e32 v3, v14, v3, vcc_lo
	v_cmp_le_f64_e32 vcc_lo, v[10:11], v[3:4]
	s_and_b32 s6, s0, vcc_lo
	s_and_saveexec_b32 s3, s6
	s_cbranch_execz .LBB21_67
; %bb.66:
	global_store_dwordx2 v[12:13], v[5:6], off
	s_waitcnt_vscnt null, 0x0
	buffer_gl1_inv
	buffer_gl0_inv
.LBB21_67:
	s_or_b32 exec_lo, exec_lo, s3
	s_mov_b32 s6, 0
.LBB21_68:
	s_andn2_b32 vcc_lo, exec_lo, s6
	s_cbranch_vccnz .LBB21_79
; %bb.69:
	s_load_dwordx2 s[4:5], s[4:5], 0x48
	v_add_nc_u32_e32 v0, s2, v7
	s_waitcnt lgkmcnt(0)
	v_cmp_ge_f64_e32 vcc_lo, s[4:5], v[10:11]
	s_and_b32 s3, s0, vcc_lo
	s_and_saveexec_b32 s2, s3
	s_cbranch_execz .LBB21_74
; %bb.70:
	s_mov_b32 s4, exec_lo
	s_brev_b32 s3, -2
.LBB21_71:                              ; =>This Inner Loop Header: Depth=1
	s_ff1_i32_b32 s5, s4
	v_readlane_b32 s6, v0, s5
	s_lshl_b32 s5, 1, s5
	s_andn2_b32 s4, s4, s5
	s_min_i32 s3, s3, s6
	s_cmp_lg_u32 s4, 0
	s_cbranch_scc1 .LBB21_71
; %bb.72:
	v_mbcnt_lo_u32_b32 v3, exec_lo, 0
	s_mov_b32 s4, exec_lo
	v_cmpx_eq_u32_e32 0, v3
	s_xor_b32 s4, exec_lo, s4
	s_cbranch_execz .LBB21_74
; %bb.73:
	v_mov_b32_e32 v3, 0
	v_mov_b32_e32 v4, s3
	global_atomic_smin v3, v4, s[22:23]
.LBB21_74:
	s_or_b32 exec_lo, exec_lo, s2
	v_cmp_eq_f64_e32 vcc_lo, 0, v[8:9]
	s_and_b32 s0, s0, vcc_lo
	s_and_b32 exec_lo, exec_lo, s0
	s_cbranch_execz .LBB21_79
; %bb.75:
	s_mov_b32 s2, exec_lo
	s_brev_b32 s0, -2
.LBB21_76:                              ; =>This Inner Loop Header: Depth=1
	s_ff1_i32_b32 s3, s2
	v_readlane_b32 s4, v0, s3
	s_lshl_b32 s3, 1, s3
	s_andn2_b32 s2, s2, s3
	s_min_i32 s0, s0, s4
	s_cmp_lg_u32 s2, 0
	s_cbranch_scc1 .LBB21_76
; %bb.77:
	v_mbcnt_lo_u32_b32 v0, exec_lo, 0
	s_mov_b32 s2, exec_lo
	v_cmpx_eq_u32_e32 0, v0
	s_xor_b32 s2, exec_lo, s2
	s_cbranch_execz .LBB21_79
; %bb.78:
	v_mov_b32_e32 v0, 0
	v_mov_b32_e32 v3, s0
	global_atomic_smin v0, v3, s[20:21]
.LBB21_79:
	s_or_b32 exec_lo, exec_lo, s1
	v_cmp_eq_u32_e32 vcc_lo, 0, v18
	s_waitcnt_vscnt null, 0x0
	buffer_gl1_inv
	buffer_gl0_inv
	s_and_b32 exec_lo, exec_lo, vcc_lo
	s_cbranch_execz .LBB21_81
; %bb.80:
	v_add_co_u32 v0, vcc_lo, s16, v1
	v_add_co_ci_u32_e64 v1, null, s17, v2, vcc_lo
	v_mov_b32_e32 v2, 1
	global_store_dword v[0:1], v2, off
.LBB21_81:
	s_endpgm
	.section	.rodata,"a",@progbits
	.p2align	6, 0x0
	.amdhsa_kernel _ZN9rocsparseL12csrilu0_hashILj256ELj64ELj2EdEEviPKiS2_PT2_S2_PiS2_S5_S5_d21rocsparse_index_base_imNS_24const_host_device_scalarIfEENS7_IdEENS7_IS3_EEb
		.amdhsa_group_segment_fixed_size 4096
		.amdhsa_private_segment_fixed_size 0
		.amdhsa_kernarg_size 124
		.amdhsa_user_sgpr_count 6
		.amdhsa_user_sgpr_private_segment_buffer 1
		.amdhsa_user_sgpr_dispatch_ptr 0
		.amdhsa_user_sgpr_queue_ptr 0
		.amdhsa_user_sgpr_kernarg_segment_ptr 1
		.amdhsa_user_sgpr_dispatch_id 0
		.amdhsa_user_sgpr_flat_scratch_init 0
		.amdhsa_user_sgpr_private_segment_size 0
		.amdhsa_wavefront_size32 1
		.amdhsa_uses_dynamic_stack 0
		.amdhsa_system_sgpr_private_segment_wavefront_offset 0
		.amdhsa_system_sgpr_workgroup_id_x 1
		.amdhsa_system_sgpr_workgroup_id_y 0
		.amdhsa_system_sgpr_workgroup_id_z 0
		.amdhsa_system_sgpr_workgroup_info 0
		.amdhsa_system_vgpr_workitem_id 0
		.amdhsa_next_free_vgpr 31
		.amdhsa_next_free_sgpr 40
		.amdhsa_reserve_vcc 1
		.amdhsa_reserve_flat_scratch 0
		.amdhsa_float_round_mode_32 0
		.amdhsa_float_round_mode_16_64 0
		.amdhsa_float_denorm_mode_32 3
		.amdhsa_float_denorm_mode_16_64 3
		.amdhsa_dx10_clamp 1
		.amdhsa_ieee_mode 1
		.amdhsa_fp16_overflow 0
		.amdhsa_workgroup_processor_mode 1
		.amdhsa_memory_ordered 1
		.amdhsa_forward_progress 1
		.amdhsa_shared_vgpr_count 0
		.amdhsa_exception_fp_ieee_invalid_op 0
		.amdhsa_exception_fp_denorm_src 0
		.amdhsa_exception_fp_ieee_div_zero 0
		.amdhsa_exception_fp_ieee_overflow 0
		.amdhsa_exception_fp_ieee_underflow 0
		.amdhsa_exception_fp_ieee_inexact 0
		.amdhsa_exception_int_div_zero 0
	.end_amdhsa_kernel
	.section	.text._ZN9rocsparseL12csrilu0_hashILj256ELj64ELj2EdEEviPKiS2_PT2_S2_PiS2_S5_S5_d21rocsparse_index_base_imNS_24const_host_device_scalarIfEENS7_IdEENS7_IS3_EEb,"axG",@progbits,_ZN9rocsparseL12csrilu0_hashILj256ELj64ELj2EdEEviPKiS2_PT2_S2_PiS2_S5_S5_d21rocsparse_index_base_imNS_24const_host_device_scalarIfEENS7_IdEENS7_IS3_EEb,comdat
.Lfunc_end21:
	.size	_ZN9rocsparseL12csrilu0_hashILj256ELj64ELj2EdEEviPKiS2_PT2_S2_PiS2_S5_S5_d21rocsparse_index_base_imNS_24const_host_device_scalarIfEENS7_IdEENS7_IS3_EEb, .Lfunc_end21-_ZN9rocsparseL12csrilu0_hashILj256ELj64ELj2EdEEviPKiS2_PT2_S2_PiS2_S5_S5_d21rocsparse_index_base_imNS_24const_host_device_scalarIfEENS7_IdEENS7_IS3_EEb
                                        ; -- End function
	.set _ZN9rocsparseL12csrilu0_hashILj256ELj64ELj2EdEEviPKiS2_PT2_S2_PiS2_S5_S5_d21rocsparse_index_base_imNS_24const_host_device_scalarIfEENS7_IdEENS7_IS3_EEb.num_vgpr, 31
	.set _ZN9rocsparseL12csrilu0_hashILj256ELj64ELj2EdEEviPKiS2_PT2_S2_PiS2_S5_S5_d21rocsparse_index_base_imNS_24const_host_device_scalarIfEENS7_IdEENS7_IS3_EEb.num_agpr, 0
	.set _ZN9rocsparseL12csrilu0_hashILj256ELj64ELj2EdEEviPKiS2_PT2_S2_PiS2_S5_S5_d21rocsparse_index_base_imNS_24const_host_device_scalarIfEENS7_IdEENS7_IS3_EEb.numbered_sgpr, 40
	.set _ZN9rocsparseL12csrilu0_hashILj256ELj64ELj2EdEEviPKiS2_PT2_S2_PiS2_S5_S5_d21rocsparse_index_base_imNS_24const_host_device_scalarIfEENS7_IdEENS7_IS3_EEb.num_named_barrier, 0
	.set _ZN9rocsparseL12csrilu0_hashILj256ELj64ELj2EdEEviPKiS2_PT2_S2_PiS2_S5_S5_d21rocsparse_index_base_imNS_24const_host_device_scalarIfEENS7_IdEENS7_IS3_EEb.private_seg_size, 0
	.set _ZN9rocsparseL12csrilu0_hashILj256ELj64ELj2EdEEviPKiS2_PT2_S2_PiS2_S5_S5_d21rocsparse_index_base_imNS_24const_host_device_scalarIfEENS7_IdEENS7_IS3_EEb.uses_vcc, 1
	.set _ZN9rocsparseL12csrilu0_hashILj256ELj64ELj2EdEEviPKiS2_PT2_S2_PiS2_S5_S5_d21rocsparse_index_base_imNS_24const_host_device_scalarIfEENS7_IdEENS7_IS3_EEb.uses_flat_scratch, 0
	.set _ZN9rocsparseL12csrilu0_hashILj256ELj64ELj2EdEEviPKiS2_PT2_S2_PiS2_S5_S5_d21rocsparse_index_base_imNS_24const_host_device_scalarIfEENS7_IdEENS7_IS3_EEb.has_dyn_sized_stack, 0
	.set _ZN9rocsparseL12csrilu0_hashILj256ELj64ELj2EdEEviPKiS2_PT2_S2_PiS2_S5_S5_d21rocsparse_index_base_imNS_24const_host_device_scalarIfEENS7_IdEENS7_IS3_EEb.has_recursion, 0
	.set _ZN9rocsparseL12csrilu0_hashILj256ELj64ELj2EdEEviPKiS2_PT2_S2_PiS2_S5_S5_d21rocsparse_index_base_imNS_24const_host_device_scalarIfEENS7_IdEENS7_IS3_EEb.has_indirect_call, 0
	.section	.AMDGPU.csdata,"",@progbits
; Kernel info:
; codeLenInByte = 2728
; TotalNumSgprs: 42
; NumVgprs: 31
; ScratchSize: 0
; MemoryBound: 0
; FloatMode: 240
; IeeeMode: 1
; LDSByteSize: 4096 bytes/workgroup (compile time only)
; SGPRBlocks: 0
; VGPRBlocks: 3
; NumSGPRsForWavesPerEU: 42
; NumVGPRsForWavesPerEU: 31
; Occupancy: 16
; WaveLimiterHint : 1
; COMPUTE_PGM_RSRC2:SCRATCH_EN: 0
; COMPUTE_PGM_RSRC2:USER_SGPR: 6
; COMPUTE_PGM_RSRC2:TRAP_HANDLER: 0
; COMPUTE_PGM_RSRC2:TGID_X_EN: 1
; COMPUTE_PGM_RSRC2:TGID_Y_EN: 0
; COMPUTE_PGM_RSRC2:TGID_Z_EN: 0
; COMPUTE_PGM_RSRC2:TIDIG_COMP_CNT: 0
	.section	.text._ZN9rocsparseL12csrilu0_hashILj256ELj64ELj4EdEEviPKiS2_PT2_S2_PiS2_S5_S5_d21rocsparse_index_base_imNS_24const_host_device_scalarIfEENS7_IdEENS7_IS3_EEb,"axG",@progbits,_ZN9rocsparseL12csrilu0_hashILj256ELj64ELj4EdEEviPKiS2_PT2_S2_PiS2_S5_S5_d21rocsparse_index_base_imNS_24const_host_device_scalarIfEENS7_IdEENS7_IS3_EEb,comdat
	.globl	_ZN9rocsparseL12csrilu0_hashILj256ELj64ELj4EdEEviPKiS2_PT2_S2_PiS2_S5_S5_d21rocsparse_index_base_imNS_24const_host_device_scalarIfEENS7_IdEENS7_IS3_EEb ; -- Begin function _ZN9rocsparseL12csrilu0_hashILj256ELj64ELj4EdEEviPKiS2_PT2_S2_PiS2_S5_S5_d21rocsparse_index_base_imNS_24const_host_device_scalarIfEENS7_IdEENS7_IS3_EEb
	.p2align	8
	.type	_ZN9rocsparseL12csrilu0_hashILj256ELj64ELj4EdEEviPKiS2_PT2_S2_PiS2_S5_S5_d21rocsparse_index_base_imNS_24const_host_device_scalarIfEENS7_IdEENS7_IS3_EEb,@function
_ZN9rocsparseL12csrilu0_hashILj256ELj64ELj4EdEEviPKiS2_PT2_S2_PiS2_S5_S5_d21rocsparse_index_base_imNS_24const_host_device_scalarIfEENS7_IdEENS7_IS3_EEb: ; @_ZN9rocsparseL12csrilu0_hashILj256ELj64ELj4EdEEviPKiS2_PT2_S2_PiS2_S5_S5_d21rocsparse_index_base_imNS_24const_host_device_scalarIfEENS7_IdEENS7_IS3_EEb
; %bb.0:
	s_clause 0x2
	s_load_dword s0, s[4:5], 0x78
	s_load_dwordx2 s[2:3], s[4:5], 0x50
	s_load_dwordx8 s[24:31], s[4:5], 0x58
	s_waitcnt lgkmcnt(0)
	s_bitcmp1_b32 s0, 0
	s_cselect_b32 s0, -1, 0
	s_cmp_eq_u32 s3, 0
	s_cselect_b32 s7, -1, 0
	s_cmp_lg_u32 s3, 0
	s_cselect_b32 s3, -1, 0
	s_or_b32 s9, s7, s0
	s_xor_b32 s8, s9, -1
	s_and_b32 s0, s7, exec_lo
	s_cselect_b32 s1, 0, s29
	s_cselect_b32 s0, 0, s28
	s_and_b32 vcc_lo, exec_lo, s9
	s_cbranch_vccnz .LBB22_2
; %bb.1:
	s_load_dword s0, s[26:27], 0x0
	s_waitcnt lgkmcnt(0)
	v_mov_b32_e32 v19, s0
	s_mov_b64 s[0:1], s[28:29]
	s_branch .LBB22_3
.LBB22_2:
	v_cndmask_b32_e64 v19, s26, 0, s7
.LBB22_3:
	v_mov_b32_e32 v4, s1
	v_cndmask_b32_e64 v1, 0, 1, s8
	v_mov_b32_e32 v3, s0
	s_andn2_b32 vcc_lo, exec_lo, s8
	s_cbranch_vccnz .LBB22_5
; %bb.4:
	v_mov_b32_e32 v2, s28
	v_mov_b32_e32 v3, s29
	flat_load_dwordx2 v[3:4], v[2:3]
.LBB22_5:
	s_and_b32 s0, s7, exec_lo
	s_cselect_b32 s1, 0, s31
	v_cmp_ne_u32_e32 vcc_lo, 1, v1
	s_cselect_b32 s0, 0, s30
	v_mov_b32_e32 v6, s1
	v_mov_b32_e32 v5, s0
	s_mov_b32 s0, 0
	s_cbranch_vccnz .LBB22_7
; %bb.6:
	v_mov_b32_e32 v1, s30
	v_mov_b32_e32 v2, s31
	flat_load_dwordx2 v[5:6], v[1:2]
.LBB22_7:
	v_lshrrev_b32_e32 v1, 6, v0
	v_and_b32_e32 v18, 63, v0
	v_lshlrev_b32_e32 v7, 10, v1
	v_lshlrev_b32_e32 v8, 2, v18
	v_or_b32_e32 v2, 0xffffffc0, v18
	v_or3_b32 v7, v7, v8, 0x1000
	v_mov_b32_e32 v8, -1
.LBB22_8:                               ; =>This Inner Loop Header: Depth=1
	v_add_nc_u32_e32 v2, 64, v2
	ds_write_b32 v7, v8
	v_add_nc_u32_e32 v7, 0x100, v7
	v_cmp_lt_u32_e32 vcc_lo, 0xbf, v2
	s_or_b32 s0, vcc_lo, s0
	s_andn2_b32 exec_lo, exec_lo, s0
	s_cbranch_execnz .LBB22_8
; %bb.9:
	s_or_b32 exec_lo, exec_lo, s0
	s_load_dword s0, s[4:5], 0x0
	s_lshl_b32 s1, s6, 2
	s_waitcnt vmcnt(0) lgkmcnt(0)
	buffer_gl0_inv
	v_and_or_b32 v1, 0x3fffffc, s1, v1
	v_cmp_gt_i32_e32 vcc_lo, s0, v1
	s_and_saveexec_b32 s0, vcc_lo
	s_cbranch_execz .LBB22_81
; %bb.10:
	s_load_dwordx16 s[8:23], s[4:5], 0x8
	v_lshlrev_b32_e32 v1, 2, v1
	v_lshlrev_b32_e32 v0, 4, v0
	s_mov_b32 s0, exec_lo
	v_and_b32_e32 v0, 0xc00, v0
	v_or_b32_e32 v20, 0x1000, v0
	s_waitcnt lgkmcnt(0)
	global_load_dword v7, v1, s[18:19]
	s_waitcnt vmcnt(0)
	v_ashrrev_i32_e32 v8, 31, v7
	v_lshlrev_b64 v[1:2], 2, v[7:8]
	v_add_co_u32 v8, vcc_lo, s8, v1
	v_add_co_ci_u32_e64 v9, null, s9, v2, vcc_lo
	v_add_co_u32 v11, vcc_lo, s14, v1
	v_add_co_ci_u32_e64 v12, null, s15, v2, vcc_lo
	global_load_dwordx2 v[9:10], v[8:9], off
	global_load_dword v8, v[11:12], off
	s_waitcnt vmcnt(1)
	v_subrev_nc_u32_e32 v9, s2, v9
	v_subrev_nc_u32_e32 v12, s2, v10
	v_add_nc_u32_e32 v10, v9, v18
	v_cmpx_lt_i32_e64 v10, v12
	s_cbranch_execz .LBB22_33
; %bb.11:
	v_mov_b32_e32 v13, -1
	s_mov_b32 s1, 0
	s_branch .LBB22_13
.LBB22_12:                              ;   in Loop: Header=BB22_13 Depth=1
	s_or_b32 exec_lo, exec_lo, s6
	v_add_nc_u32_e32 v10, 64, v10
	v_cmp_ge_i32_e32 vcc_lo, v10, v12
	s_or_b32 s1, vcc_lo, s1
	s_andn2_b32 exec_lo, exec_lo, s1
	s_cbranch_execz .LBB22_33
.LBB22_13:                              ; =>This Loop Header: Depth=1
                                        ;     Child Loop BB22_22 Depth 2
	v_ashrrev_i32_e32 v11, 31, v10
	s_mov_b32 s6, 0
                                        ; implicit-def: $sgpr7
                                        ; implicit-def: $sgpr18
                                        ; implicit-def: $sgpr19
	v_lshlrev_b64 v[14:15], 2, v[10:11]
	v_add_co_u32 v14, vcc_lo, s10, v14
	v_add_co_ci_u32_e64 v15, null, s11, v15, vcc_lo
	global_load_dword v11, v[14:15], off
	v_mov_b32_e32 v14, 0x100
	s_waitcnt vmcnt(0)
	v_mul_lo_u32 v16, 0x67, v11
	s_branch .LBB22_22
.LBB22_14:                              ;   in Loop: Header=BB22_22 Depth=2
	s_or_b32 exec_lo, exec_lo, s36
	s_orn2_b32 s34, s34, exec_lo
	s_orn2_b32 s35, s35, exec_lo
.LBB22_15:                              ;   in Loop: Header=BB22_22 Depth=2
	s_or_b32 exec_lo, exec_lo, s33
	s_and_b32 s34, s34, exec_lo
	s_orn2_b32 s33, s35, exec_lo
.LBB22_16:                              ;   in Loop: Header=BB22_22 Depth=2
	s_or_b32 exec_lo, exec_lo, s31
	s_orn2_b32 s31, s34, exec_lo
	s_orn2_b32 s33, s33, exec_lo
.LBB22_17:                              ;   in Loop: Header=BB22_22 Depth=2
	s_or_b32 exec_lo, exec_lo, s30
	s_and_b32 s31, s31, exec_lo
	s_orn2_b32 s30, s33, exec_lo
.LBB22_18:                              ;   in Loop: Header=BB22_22 Depth=2
	s_or_b32 exec_lo, exec_lo, s29
	s_orn2_b32 s29, s31, exec_lo
	s_orn2_b32 s30, s30, exec_lo
.LBB22_19:                              ;   in Loop: Header=BB22_22 Depth=2
	s_or_b32 exec_lo, exec_lo, s28
	s_and_b32 s29, s29, exec_lo
	s_orn2_b32 s28, s30, exec_lo
.LBB22_20:                              ;   in Loop: Header=BB22_22 Depth=2
	s_or_b32 exec_lo, exec_lo, s27
	s_andn2_b32 s19, s19, exec_lo
	s_and_b32 s27, s29, exec_lo
	s_andn2_b32 s18, s18, exec_lo
	s_and_b32 s28, s28, exec_lo
	s_or_b32 s19, s19, s27
	s_or_b32 s18, s18, s28
.LBB22_21:                              ;   in Loop: Header=BB22_22 Depth=2
	s_or_b32 exec_lo, exec_lo, s26
	s_and_b32 s26, exec_lo, s18
	s_or_b32 s6, s26, s6
	s_andn2_b32 s7, s7, exec_lo
	s_and_b32 s26, s19, exec_lo
	s_or_b32 s7, s7, s26
	s_andn2_b32 exec_lo, exec_lo, s6
	s_cbranch_execz .LBB22_31
.LBB22_22:                              ;   Parent Loop BB22_13 Depth=1
                                        ; =>  This Inner Loop Header: Depth=2
	v_and_b32_e32 v15, 0xff, v16
	s_or_b32 s19, s19, exec_lo
	s_or_b32 s18, s18, exec_lo
	s_mov_b32 s26, exec_lo
	v_lshl_add_u32 v17, v15, 2, v20
	ds_read_b32 v21, v17
	s_waitcnt lgkmcnt(0)
	v_cmpx_ne_u32_e64 v21, v11
	s_cbranch_execz .LBB22_21
; %bb.23:                               ;   in Loop: Header=BB22_22 Depth=2
	ds_cmpst_rtn_b32 v17, v17, v13, v11
	s_mov_b32 s28, -1
	s_mov_b32 s29, 0
	s_mov_b32 s27, exec_lo
	s_waitcnt lgkmcnt(0)
	v_cmpx_ne_u32_e32 -1, v17
	s_cbranch_execz .LBB22_20
; %bb.24:                               ;   in Loop: Header=BB22_22 Depth=2
	v_add_nc_u32_e32 v15, 1, v16
	s_mov_b32 s30, -1
	s_mov_b32 s29, -1
	s_mov_b32 s28, exec_lo
	v_and_b32_e32 v15, 0xff, v15
	v_lshl_add_u32 v17, v15, 2, v20
	ds_read_b32 v21, v17
	s_waitcnt lgkmcnt(0)
	v_cmpx_ne_u32_e64 v21, v11
	s_cbranch_execz .LBB22_19
; %bb.25:                               ;   in Loop: Header=BB22_22 Depth=2
	ds_cmpst_rtn_b32 v17, v17, v13, v11
	s_mov_b32 s31, 0
	s_mov_b32 s29, exec_lo
	s_waitcnt lgkmcnt(0)
	v_cmpx_ne_u32_e32 -1, v17
	s_cbranch_execz .LBB22_18
; %bb.26:                               ;   in Loop: Header=BB22_22 Depth=2
	v_add_nc_u32_e32 v15, 2, v16
	s_mov_b32 s33, -1
	s_mov_b32 s31, -1
	s_mov_b32 s30, exec_lo
	v_and_b32_e32 v15, 0xff, v15
	v_lshl_add_u32 v17, v15, 2, v20
	ds_read_b32 v21, v17
	s_waitcnt lgkmcnt(0)
	v_cmpx_ne_u32_e64 v21, v11
	s_cbranch_execz .LBB22_17
; %bb.27:                               ;   in Loop: Header=BB22_22 Depth=2
	ds_cmpst_rtn_b32 v17, v17, v13, v11
	s_mov_b32 s34, 0
	s_mov_b32 s31, exec_lo
	s_waitcnt lgkmcnt(0)
	v_cmpx_ne_u32_e32 -1, v17
	s_cbranch_execz .LBB22_16
; %bb.28:                               ;   in Loop: Header=BB22_22 Depth=2
	v_add_nc_u32_e32 v15, 3, v16
	s_mov_b32 s35, -1
	s_mov_b32 s34, -1
	v_and_b32_e32 v15, 0xff, v15
	v_lshl_add_u32 v17, v15, 2, v20
	ds_read_b32 v16, v17
	s_waitcnt lgkmcnt(0)
	v_cmp_ne_u32_e32 vcc_lo, v16, v11
                                        ; implicit-def: $vgpr16
	s_and_saveexec_b32 s33, vcc_lo
	s_cbranch_execz .LBB22_15
; %bb.29:                               ;   in Loop: Header=BB22_22 Depth=2
	ds_cmpst_rtn_b32 v16, v17, v13, v11
	s_mov_b32 s34, 0
	s_waitcnt lgkmcnt(0)
	v_cmp_ne_u32_e32 vcc_lo, -1, v16
                                        ; implicit-def: $vgpr16
	s_and_saveexec_b32 s36, vcc_lo
	s_cbranch_execz .LBB22_14
; %bb.30:                               ;   in Loop: Header=BB22_22 Depth=2
	v_add_nc_u32_e32 v14, -4, v14
	v_add_nc_u32_e32 v16, 1, v15
	s_mov_b32 s34, exec_lo
	v_cmp_eq_u32_e32 vcc_lo, 0, v14
	s_orn2_b32 s35, vcc_lo, exec_lo
	s_branch .LBB22_14
.LBB22_31:                              ;   in Loop: Header=BB22_13 Depth=1
	s_or_b32 exec_lo, exec_lo, s6
	s_xor_b32 s6, s7, -1
	s_and_saveexec_b32 s7, s6
	s_xor_b32 s6, exec_lo, s7
	s_cbranch_execz .LBB22_12
; %bb.32:                               ;   in Loop: Header=BB22_13 Depth=1
	v_lshl_add_u32 v11, v15, 2, v0
	ds_write_b32 v11, v10
	s_branch .LBB22_12
.LBB22_33:
	s_or_b32 exec_lo, exec_lo, s0
	s_mov_b32 s0, exec_lo
	s_waitcnt vmcnt(0) lgkmcnt(0)
	buffer_gl0_inv
	v_cmpx_lt_i32_e64 v9, v8
	s_cbranch_execz .LBB22_63
; %bb.34:
	v_add_nc_u32_e32 v21, 1, v18
	s_mov_b32 s1, 0
	s_branch .LBB22_37
.LBB22_35:                              ;   in Loop: Header=BB22_37 Depth=1
	s_or_b32 exec_lo, exec_lo, s7
	v_add_nc_u32_e32 v9, 1, v9
	v_cmp_ge_i32_e32 vcc_lo, v9, v8
	s_orn2_b32 s7, vcc_lo, exec_lo
.LBB22_36:                              ;   in Loop: Header=BB22_37 Depth=1
	s_or_b32 exec_lo, exec_lo, s6
	s_and_b32 s6, exec_lo, s7
	s_or_b32 s1, s6, s1
	s_andn2_b32 exec_lo, exec_lo, s1
	s_cbranch_execz .LBB22_63
.LBB22_37:                              ; =>This Loop Header: Depth=1
                                        ;     Child Loop BB22_38 Depth 2
                                        ;     Child Loop BB22_43 Depth 2
                                        ;       Child Loop BB22_52 Depth 3
	v_ashrrev_i32_e32 v10, 31, v9
	s_mov_b32 s6, 0
	v_lshlrev_b64 v[11:12], 2, v[9:10]
	v_lshlrev_b64 v[13:14], 3, v[9:10]
	v_add_co_u32 v11, vcc_lo, s10, v11
	v_add_co_ci_u32_e64 v12, null, s11, v12, vcc_lo
	v_add_co_u32 v13, vcc_lo, s12, v13
	v_add_co_ci_u32_e64 v14, null, s13, v14, vcc_lo
	global_load_dword v11, v[11:12], off
	s_waitcnt vmcnt(0)
	v_subrev_nc_u32_e32 v11, s2, v11
	v_ashrrev_i32_e32 v12, 31, v11
	v_lshlrev_b64 v[15:16], 2, v[11:12]
	v_add_co_u32 v22, vcc_lo, s8, v15
	v_add_co_ci_u32_e64 v23, null, s9, v16, vcc_lo
	v_add_co_u32 v24, vcc_lo, s14, v15
	v_add_co_ci_u32_e64 v25, null, s15, v16, vcc_lo
	global_load_dwordx2 v[10:11], v[13:14], off
	global_load_dword v12, v[22:23], off offset:4
	global_load_dword v17, v[24:25], off
	v_add_co_u32 v15, vcc_lo, s16, v15
	v_add_co_ci_u32_e64 v16, null, s17, v16, vcc_lo
.LBB22_38:                              ;   Parent Loop BB22_37 Depth=1
                                        ; =>  This Inner Loop Header: Depth=2
	global_load_dword v22, v[15:16], off glc dlc
	s_waitcnt vmcnt(0)
	v_cmp_ne_u32_e32 vcc_lo, 0, v22
	s_or_b32 s6, vcc_lo, s6
	s_andn2_b32 exec_lo, exec_lo, s6
	s_cbranch_execnz .LBB22_38
; %bb.39:                               ;   in Loop: Header=BB22_37 Depth=1
	s_or_b32 exec_lo, exec_lo, s6
	v_subrev_nc_u32_e32 v22, s2, v12
	v_cmp_eq_u32_e32 vcc_lo, -1, v17
	buffer_gl1_inv
	buffer_gl0_inv
	s_mov_b32 s7, -1
	s_mov_b32 s6, exec_lo
	v_add_nc_u32_e32 v12, -1, v22
	v_cndmask_b32_e32 v15, v17, v12, vcc_lo
	v_ashrrev_i32_e32 v16, 31, v15
	v_lshlrev_b64 v[16:17], 3, v[15:16]
	v_add_co_u32 v16, vcc_lo, s12, v16
	v_add_co_ci_u32_e64 v17, null, s13, v17, vcc_lo
	global_load_dwordx2 v[16:17], v[16:17], off
	s_waitcnt vmcnt(0)
	v_cmpx_neq_f64_e32 0, v[16:17]
	s_cbranch_execz .LBB22_36
; %bb.40:                               ;   in Loop: Header=BB22_37 Depth=1
	v_div_scale_f64 v[23:24], null, v[16:17], v[16:17], v[10:11]
	v_add_nc_u32_e32 v12, v21, v15
	s_mov_b32 s7, exec_lo
	v_rcp_f64_e32 v[25:26], v[23:24]
	v_fma_f64 v[27:28], -v[23:24], v[25:26], 1.0
	v_fma_f64 v[25:26], v[25:26], v[27:28], v[25:26]
	v_fma_f64 v[27:28], -v[23:24], v[25:26], 1.0
	v_fma_f64 v[25:26], v[25:26], v[27:28], v[25:26]
	v_div_scale_f64 v[27:28], vcc_lo, v[10:11], v[16:17], v[10:11]
	v_mul_f64 v[29:30], v[27:28], v[25:26]
	v_fma_f64 v[23:24], -v[23:24], v[29:30], v[27:28]
	v_div_fmas_f64 v[23:24], v[23:24], v[25:26], v[29:30]
	v_div_fixup_f64 v[10:11], v[23:24], v[16:17], v[10:11]
	global_store_dwordx2 v[13:14], v[10:11], off
	v_cmpx_lt_i32_e64 v12, v22
	s_cbranch_execz .LBB22_35
; %bb.41:                               ;   in Loop: Header=BB22_37 Depth=1
	s_mov_b32 s18, 0
	s_branch .LBB22_43
.LBB22_42:                              ;   in Loop: Header=BB22_43 Depth=2
	s_or_b32 exec_lo, exec_lo, s19
	v_add_nc_u32_e32 v12, 64, v12
	v_cmp_ge_i32_e32 vcc_lo, v12, v22
	s_or_b32 s18, vcc_lo, s18
	s_andn2_b32 exec_lo, exec_lo, s18
	s_cbranch_execz .LBB22_35
.LBB22_43:                              ;   Parent Loop BB22_37 Depth=1
                                        ; =>  This Loop Header: Depth=2
                                        ;       Child Loop BB22_52 Depth 3
	v_ashrrev_i32_e32 v13, 31, v12
	s_mov_b32 s19, 0
                                        ; implicit-def: $sgpr26
                                        ; implicit-def: $sgpr27
                                        ; implicit-def: $sgpr28
	v_lshlrev_b64 v[14:15], 2, v[12:13]
	v_add_co_u32 v14, vcc_lo, s10, v14
	v_add_co_ci_u32_e64 v15, null, s11, v15, vcc_lo
	global_load_dword v14, v[14:15], off
	v_mov_b32_e32 v15, 0x100
	s_waitcnt vmcnt(0)
	v_mul_lo_u32 v17, 0x67, v14
	s_branch .LBB22_52
.LBB22_44:                              ;   in Loop: Header=BB22_52 Depth=3
	s_or_b32 exec_lo, exec_lo, s39
	s_orn2_b32 s37, s37, exec_lo
	s_orn2_b32 s38, s38, exec_lo
.LBB22_45:                              ;   in Loop: Header=BB22_52 Depth=3
	s_or_b32 exec_lo, exec_lo, s36
	s_and_b32 s37, s37, exec_lo
	s_orn2_b32 s36, s38, exec_lo
.LBB22_46:                              ;   in Loop: Header=BB22_52 Depth=3
	s_or_b32 exec_lo, exec_lo, s35
	s_orn2_b32 s35, s37, exec_lo
	s_orn2_b32 s36, s36, exec_lo
.LBB22_47:                              ;   in Loop: Header=BB22_52 Depth=3
	s_or_b32 exec_lo, exec_lo, s34
	s_and_b32 s35, s35, exec_lo
	s_orn2_b32 s34, s36, exec_lo
.LBB22_48:                              ;   in Loop: Header=BB22_52 Depth=3
	s_or_b32 exec_lo, exec_lo, s33
	s_orn2_b32 s33, s35, exec_lo
	s_orn2_b32 s34, s34, exec_lo
.LBB22_49:                              ;   in Loop: Header=BB22_52 Depth=3
	s_or_b32 exec_lo, exec_lo, s31
	s_and_b32 s33, s33, exec_lo
	s_orn2_b32 s31, s34, exec_lo
.LBB22_50:                              ;   in Loop: Header=BB22_52 Depth=3
	s_or_b32 exec_lo, exec_lo, s30
	s_andn2_b32 s28, s28, exec_lo
	s_and_b32 s30, s33, exec_lo
	s_andn2_b32 s27, s27, exec_lo
	s_and_b32 s31, s31, exec_lo
	s_or_b32 s28, s28, s30
	s_or_b32 s27, s27, s31
.LBB22_51:                              ;   in Loop: Header=BB22_52 Depth=3
	s_or_b32 exec_lo, exec_lo, s29
	s_and_b32 s29, exec_lo, s27
	s_or_b32 s19, s29, s19
	s_andn2_b32 s26, s26, exec_lo
	s_and_b32 s29, s28, exec_lo
	s_or_b32 s26, s26, s29
	s_andn2_b32 exec_lo, exec_lo, s19
	s_cbranch_execz .LBB22_61
.LBB22_52:                              ;   Parent Loop BB22_37 Depth=1
                                        ;     Parent Loop BB22_43 Depth=2
                                        ; =>    This Inner Loop Header: Depth=3
	v_and_b32_e32 v16, 0xff, v17
	s_or_b32 s28, s28, exec_lo
	s_or_b32 s27, s27, exec_lo
	s_mov_b32 s29, exec_lo
	v_lshl_add_u32 v23, v16, 2, v20
	ds_read_b32 v23, v23
	s_waitcnt lgkmcnt(0)
	v_cmpx_ne_u32_e32 -1, v23
	s_cbranch_execz .LBB22_51
; %bb.53:                               ;   in Loop: Header=BB22_52 Depth=3
	s_mov_b32 s31, -1
	s_mov_b32 s33, 0
	s_mov_b32 s30, exec_lo
	v_cmpx_ne_u32_e64 v23, v14
	s_cbranch_execz .LBB22_50
; %bb.54:                               ;   in Loop: Header=BB22_52 Depth=3
	v_add_nc_u32_e32 v16, 1, v17
	s_mov_b32 s34, -1
	s_mov_b32 s33, -1
	s_mov_b32 s31, exec_lo
	v_and_b32_e32 v16, 0xff, v16
	v_lshl_add_u32 v23, v16, 2, v20
	ds_read_b32 v23, v23
	s_waitcnt lgkmcnt(0)
	v_cmpx_ne_u32_e32 -1, v23
	s_cbranch_execz .LBB22_49
; %bb.55:                               ;   in Loop: Header=BB22_52 Depth=3
	s_mov_b32 s35, 0
	s_mov_b32 s33, exec_lo
	v_cmpx_ne_u32_e64 v23, v14
	s_cbranch_execz .LBB22_48
; %bb.56:                               ;   in Loop: Header=BB22_52 Depth=3
	v_add_nc_u32_e32 v16, 2, v17
	s_mov_b32 s36, -1
	s_mov_b32 s35, -1
	s_mov_b32 s34, exec_lo
	v_and_b32_e32 v16, 0xff, v16
	v_lshl_add_u32 v23, v16, 2, v20
	ds_read_b32 v23, v23
	s_waitcnt lgkmcnt(0)
	v_cmpx_ne_u32_e32 -1, v23
	s_cbranch_execz .LBB22_47
; %bb.57:                               ;   in Loop: Header=BB22_52 Depth=3
	s_mov_b32 s37, 0
	s_mov_b32 s35, exec_lo
	v_cmpx_ne_u32_e64 v23, v14
	s_cbranch_execz .LBB22_46
; %bb.58:                               ;   in Loop: Header=BB22_52 Depth=3
	v_add_nc_u32_e32 v16, 3, v17
	s_mov_b32 s38, -1
	s_mov_b32 s37, -1
	s_mov_b32 s36, exec_lo
	v_and_b32_e32 v16, 0xff, v16
	v_lshl_add_u32 v17, v16, 2, v20
	ds_read_b32 v23, v17
                                        ; implicit-def: $vgpr17
	s_waitcnt lgkmcnt(0)
	v_cmpx_ne_u32_e32 -1, v23
	s_cbranch_execz .LBB22_45
; %bb.59:                               ;   in Loop: Header=BB22_52 Depth=3
	s_mov_b32 s37, 0
	s_mov_b32 s39, exec_lo
                                        ; implicit-def: $vgpr17
	v_cmpx_ne_u32_e64 v23, v14
	s_cbranch_execz .LBB22_44
; %bb.60:                               ;   in Loop: Header=BB22_52 Depth=3
	v_add_nc_u32_e32 v15, -4, v15
	v_add_nc_u32_e32 v17, 1, v16
	s_mov_b32 s37, exec_lo
	v_cmp_eq_u32_e32 vcc_lo, 0, v15
	s_orn2_b32 s38, vcc_lo, exec_lo
	s_branch .LBB22_44
.LBB22_61:                              ;   in Loop: Header=BB22_43 Depth=2
	s_or_b32 exec_lo, exec_lo, s19
	s_xor_b32 s19, s26, -1
	s_and_saveexec_b32 s26, s19
	s_xor_b32 s19, exec_lo, s26
	s_cbranch_execz .LBB22_42
; %bb.62:                               ;   in Loop: Header=BB22_43 Depth=2
	v_lshl_add_u32 v14, v16, 2, v0
	v_lshlrev_b64 v[16:17], 3, v[12:13]
	ds_read_b32 v14, v14
	s_waitcnt lgkmcnt(0)
	v_ashrrev_i32_e32 v15, 31, v14
	v_lshlrev_b64 v[13:14], 3, v[14:15]
	v_add_co_u32 v15, vcc_lo, s12, v16
	v_add_co_ci_u32_e64 v16, null, s13, v17, vcc_lo
	v_add_co_u32 v13, vcc_lo, s12, v13
	v_add_co_ci_u32_e64 v14, null, s13, v14, vcc_lo
	s_clause 0x1
	global_load_dwordx2 v[15:16], v[15:16], off
	global_load_dwordx2 v[23:24], v[13:14], off
	s_waitcnt vmcnt(0)
	v_fma_f64 v[15:16], -v[10:11], v[15:16], v[23:24]
	global_store_dwordx2 v[13:14], v[15:16], off
	s_branch .LBB22_42
.LBB22_63:
	s_or_b32 exec_lo, exec_lo, s0
	s_mov_b32 s6, -1
	s_mov_b32 s1, exec_lo
	s_waitcnt_vscnt null, 0x0
	buffer_gl0_inv
	v_cmpx_lt_i32_e32 -1, v8
	s_cbranch_execz .LBB22_79
; %bb.64:
	v_mov_b32_e32 v9, 0
	v_cmp_eq_u32_e64 s0, 0, v18
	v_lshlrev_b64 v[8:9], 3, v[8:9]
	v_add_co_u32 v12, vcc_lo, s12, v8
	v_add_co_ci_u32_e64 v13, null, s13, v9, vcc_lo
	global_load_dwordx2 v[8:9], v[12:13], off
	s_waitcnt vmcnt(0)
	v_cmp_gt_f64_e32 vcc_lo, 0, v[8:9]
	v_xor_b32_e32 v0, 0x80000000, v9
	v_mov_b32_e32 v10, v8
	v_cndmask_b32_e32 v11, v9, v0, vcc_lo
	s_andn2_b32 vcc_lo, exec_lo, s3
	s_cbranch_vccnz .LBB22_68
; %bb.65:
	v_cvt_f64_f32_e32 v[14:15], v19
	s_cmp_eq_u64 s[24:25], 8
	s_cselect_b32 vcc_lo, -1, 0
	v_cndmask_b32_e32 v4, v15, v4, vcc_lo
	v_cndmask_b32_e32 v3, v14, v3, vcc_lo
	v_cmp_le_f64_e32 vcc_lo, v[10:11], v[3:4]
	s_and_b32 s6, s0, vcc_lo
	s_and_saveexec_b32 s3, s6
	s_cbranch_execz .LBB22_67
; %bb.66:
	global_store_dwordx2 v[12:13], v[5:6], off
	s_waitcnt_vscnt null, 0x0
	buffer_gl1_inv
	buffer_gl0_inv
.LBB22_67:
	s_or_b32 exec_lo, exec_lo, s3
	s_mov_b32 s6, 0
.LBB22_68:
	s_andn2_b32 vcc_lo, exec_lo, s6
	s_cbranch_vccnz .LBB22_79
; %bb.69:
	s_load_dwordx2 s[4:5], s[4:5], 0x48
	v_add_nc_u32_e32 v0, s2, v7
	s_waitcnt lgkmcnt(0)
	v_cmp_ge_f64_e32 vcc_lo, s[4:5], v[10:11]
	s_and_b32 s3, s0, vcc_lo
	s_and_saveexec_b32 s2, s3
	s_cbranch_execz .LBB22_74
; %bb.70:
	s_mov_b32 s4, exec_lo
	s_brev_b32 s3, -2
.LBB22_71:                              ; =>This Inner Loop Header: Depth=1
	s_ff1_i32_b32 s5, s4
	v_readlane_b32 s6, v0, s5
	s_lshl_b32 s5, 1, s5
	s_andn2_b32 s4, s4, s5
	s_min_i32 s3, s3, s6
	s_cmp_lg_u32 s4, 0
	s_cbranch_scc1 .LBB22_71
; %bb.72:
	v_mbcnt_lo_u32_b32 v3, exec_lo, 0
	s_mov_b32 s4, exec_lo
	v_cmpx_eq_u32_e32 0, v3
	s_xor_b32 s4, exec_lo, s4
	s_cbranch_execz .LBB22_74
; %bb.73:
	v_mov_b32_e32 v3, 0
	v_mov_b32_e32 v4, s3
	global_atomic_smin v3, v4, s[22:23]
.LBB22_74:
	s_or_b32 exec_lo, exec_lo, s2
	v_cmp_eq_f64_e32 vcc_lo, 0, v[8:9]
	s_and_b32 s0, s0, vcc_lo
	s_and_b32 exec_lo, exec_lo, s0
	s_cbranch_execz .LBB22_79
; %bb.75:
	s_mov_b32 s2, exec_lo
	s_brev_b32 s0, -2
.LBB22_76:                              ; =>This Inner Loop Header: Depth=1
	s_ff1_i32_b32 s3, s2
	v_readlane_b32 s4, v0, s3
	s_lshl_b32 s3, 1, s3
	s_andn2_b32 s2, s2, s3
	s_min_i32 s0, s0, s4
	s_cmp_lg_u32 s2, 0
	s_cbranch_scc1 .LBB22_76
; %bb.77:
	v_mbcnt_lo_u32_b32 v0, exec_lo, 0
	s_mov_b32 s2, exec_lo
	v_cmpx_eq_u32_e32 0, v0
	s_xor_b32 s2, exec_lo, s2
	s_cbranch_execz .LBB22_79
; %bb.78:
	v_mov_b32_e32 v0, 0
	v_mov_b32_e32 v3, s0
	global_atomic_smin v0, v3, s[20:21]
.LBB22_79:
	s_or_b32 exec_lo, exec_lo, s1
	v_cmp_eq_u32_e32 vcc_lo, 0, v18
	s_waitcnt_vscnt null, 0x0
	buffer_gl1_inv
	buffer_gl0_inv
	s_and_b32 exec_lo, exec_lo, vcc_lo
	s_cbranch_execz .LBB22_81
; %bb.80:
	v_add_co_u32 v0, vcc_lo, s16, v1
	v_add_co_ci_u32_e64 v1, null, s17, v2, vcc_lo
	v_mov_b32_e32 v2, 1
	global_store_dword v[0:1], v2, off
.LBB22_81:
	s_endpgm
	.section	.rodata,"a",@progbits
	.p2align	6, 0x0
	.amdhsa_kernel _ZN9rocsparseL12csrilu0_hashILj256ELj64ELj4EdEEviPKiS2_PT2_S2_PiS2_S5_S5_d21rocsparse_index_base_imNS_24const_host_device_scalarIfEENS7_IdEENS7_IS3_EEb
		.amdhsa_group_segment_fixed_size 8192
		.amdhsa_private_segment_fixed_size 0
		.amdhsa_kernarg_size 124
		.amdhsa_user_sgpr_count 6
		.amdhsa_user_sgpr_private_segment_buffer 1
		.amdhsa_user_sgpr_dispatch_ptr 0
		.amdhsa_user_sgpr_queue_ptr 0
		.amdhsa_user_sgpr_kernarg_segment_ptr 1
		.amdhsa_user_sgpr_dispatch_id 0
		.amdhsa_user_sgpr_flat_scratch_init 0
		.amdhsa_user_sgpr_private_segment_size 0
		.amdhsa_wavefront_size32 1
		.amdhsa_uses_dynamic_stack 0
		.amdhsa_system_sgpr_private_segment_wavefront_offset 0
		.amdhsa_system_sgpr_workgroup_id_x 1
		.amdhsa_system_sgpr_workgroup_id_y 0
		.amdhsa_system_sgpr_workgroup_id_z 0
		.amdhsa_system_sgpr_workgroup_info 0
		.amdhsa_system_vgpr_workitem_id 0
		.amdhsa_next_free_vgpr 31
		.amdhsa_next_free_sgpr 40
		.amdhsa_reserve_vcc 1
		.amdhsa_reserve_flat_scratch 0
		.amdhsa_float_round_mode_32 0
		.amdhsa_float_round_mode_16_64 0
		.amdhsa_float_denorm_mode_32 3
		.amdhsa_float_denorm_mode_16_64 3
		.amdhsa_dx10_clamp 1
		.amdhsa_ieee_mode 1
		.amdhsa_fp16_overflow 0
		.amdhsa_workgroup_processor_mode 1
		.amdhsa_memory_ordered 1
		.amdhsa_forward_progress 1
		.amdhsa_shared_vgpr_count 0
		.amdhsa_exception_fp_ieee_invalid_op 0
		.amdhsa_exception_fp_denorm_src 0
		.amdhsa_exception_fp_ieee_div_zero 0
		.amdhsa_exception_fp_ieee_overflow 0
		.amdhsa_exception_fp_ieee_underflow 0
		.amdhsa_exception_fp_ieee_inexact 0
		.amdhsa_exception_int_div_zero 0
	.end_amdhsa_kernel
	.section	.text._ZN9rocsparseL12csrilu0_hashILj256ELj64ELj4EdEEviPKiS2_PT2_S2_PiS2_S5_S5_d21rocsparse_index_base_imNS_24const_host_device_scalarIfEENS7_IdEENS7_IS3_EEb,"axG",@progbits,_ZN9rocsparseL12csrilu0_hashILj256ELj64ELj4EdEEviPKiS2_PT2_S2_PiS2_S5_S5_d21rocsparse_index_base_imNS_24const_host_device_scalarIfEENS7_IdEENS7_IS3_EEb,comdat
.Lfunc_end22:
	.size	_ZN9rocsparseL12csrilu0_hashILj256ELj64ELj4EdEEviPKiS2_PT2_S2_PiS2_S5_S5_d21rocsparse_index_base_imNS_24const_host_device_scalarIfEENS7_IdEENS7_IS3_EEb, .Lfunc_end22-_ZN9rocsparseL12csrilu0_hashILj256ELj64ELj4EdEEviPKiS2_PT2_S2_PiS2_S5_S5_d21rocsparse_index_base_imNS_24const_host_device_scalarIfEENS7_IdEENS7_IS3_EEb
                                        ; -- End function
	.set _ZN9rocsparseL12csrilu0_hashILj256ELj64ELj4EdEEviPKiS2_PT2_S2_PiS2_S5_S5_d21rocsparse_index_base_imNS_24const_host_device_scalarIfEENS7_IdEENS7_IS3_EEb.num_vgpr, 31
	.set _ZN9rocsparseL12csrilu0_hashILj256ELj64ELj4EdEEviPKiS2_PT2_S2_PiS2_S5_S5_d21rocsparse_index_base_imNS_24const_host_device_scalarIfEENS7_IdEENS7_IS3_EEb.num_agpr, 0
	.set _ZN9rocsparseL12csrilu0_hashILj256ELj64ELj4EdEEviPKiS2_PT2_S2_PiS2_S5_S5_d21rocsparse_index_base_imNS_24const_host_device_scalarIfEENS7_IdEENS7_IS3_EEb.numbered_sgpr, 40
	.set _ZN9rocsparseL12csrilu0_hashILj256ELj64ELj4EdEEviPKiS2_PT2_S2_PiS2_S5_S5_d21rocsparse_index_base_imNS_24const_host_device_scalarIfEENS7_IdEENS7_IS3_EEb.num_named_barrier, 0
	.set _ZN9rocsparseL12csrilu0_hashILj256ELj64ELj4EdEEviPKiS2_PT2_S2_PiS2_S5_S5_d21rocsparse_index_base_imNS_24const_host_device_scalarIfEENS7_IdEENS7_IS3_EEb.private_seg_size, 0
	.set _ZN9rocsparseL12csrilu0_hashILj256ELj64ELj4EdEEviPKiS2_PT2_S2_PiS2_S5_S5_d21rocsparse_index_base_imNS_24const_host_device_scalarIfEENS7_IdEENS7_IS3_EEb.uses_vcc, 1
	.set _ZN9rocsparseL12csrilu0_hashILj256ELj64ELj4EdEEviPKiS2_PT2_S2_PiS2_S5_S5_d21rocsparse_index_base_imNS_24const_host_device_scalarIfEENS7_IdEENS7_IS3_EEb.uses_flat_scratch, 0
	.set _ZN9rocsparseL12csrilu0_hashILj256ELj64ELj4EdEEviPKiS2_PT2_S2_PiS2_S5_S5_d21rocsparse_index_base_imNS_24const_host_device_scalarIfEENS7_IdEENS7_IS3_EEb.has_dyn_sized_stack, 0
	.set _ZN9rocsparseL12csrilu0_hashILj256ELj64ELj4EdEEviPKiS2_PT2_S2_PiS2_S5_S5_d21rocsparse_index_base_imNS_24const_host_device_scalarIfEENS7_IdEENS7_IS3_EEb.has_recursion, 0
	.set _ZN9rocsparseL12csrilu0_hashILj256ELj64ELj4EdEEviPKiS2_PT2_S2_PiS2_S5_S5_d21rocsparse_index_base_imNS_24const_host_device_scalarIfEENS7_IdEENS7_IS3_EEb.has_indirect_call, 0
	.section	.AMDGPU.csdata,"",@progbits
; Kernel info:
; codeLenInByte = 2724
; TotalNumSgprs: 42
; NumVgprs: 31
; ScratchSize: 0
; MemoryBound: 0
; FloatMode: 240
; IeeeMode: 1
; LDSByteSize: 8192 bytes/workgroup (compile time only)
; SGPRBlocks: 0
; VGPRBlocks: 3
; NumSGPRsForWavesPerEU: 42
; NumVGPRsForWavesPerEU: 31
; Occupancy: 16
; WaveLimiterHint : 1
; COMPUTE_PGM_RSRC2:SCRATCH_EN: 0
; COMPUTE_PGM_RSRC2:USER_SGPR: 6
; COMPUTE_PGM_RSRC2:TRAP_HANDLER: 0
; COMPUTE_PGM_RSRC2:TGID_X_EN: 1
; COMPUTE_PGM_RSRC2:TGID_Y_EN: 0
; COMPUTE_PGM_RSRC2:TGID_Z_EN: 0
; COMPUTE_PGM_RSRC2:TIDIG_COMP_CNT: 0
	.section	.text._ZN9rocsparseL12csrilu0_hashILj256ELj64ELj8EdEEviPKiS2_PT2_S2_PiS2_S5_S5_d21rocsparse_index_base_imNS_24const_host_device_scalarIfEENS7_IdEENS7_IS3_EEb,"axG",@progbits,_ZN9rocsparseL12csrilu0_hashILj256ELj64ELj8EdEEviPKiS2_PT2_S2_PiS2_S5_S5_d21rocsparse_index_base_imNS_24const_host_device_scalarIfEENS7_IdEENS7_IS3_EEb,comdat
	.globl	_ZN9rocsparseL12csrilu0_hashILj256ELj64ELj8EdEEviPKiS2_PT2_S2_PiS2_S5_S5_d21rocsparse_index_base_imNS_24const_host_device_scalarIfEENS7_IdEENS7_IS3_EEb ; -- Begin function _ZN9rocsparseL12csrilu0_hashILj256ELj64ELj8EdEEviPKiS2_PT2_S2_PiS2_S5_S5_d21rocsparse_index_base_imNS_24const_host_device_scalarIfEENS7_IdEENS7_IS3_EEb
	.p2align	8
	.type	_ZN9rocsparseL12csrilu0_hashILj256ELj64ELj8EdEEviPKiS2_PT2_S2_PiS2_S5_S5_d21rocsparse_index_base_imNS_24const_host_device_scalarIfEENS7_IdEENS7_IS3_EEb,@function
_ZN9rocsparseL12csrilu0_hashILj256ELj64ELj8EdEEviPKiS2_PT2_S2_PiS2_S5_S5_d21rocsparse_index_base_imNS_24const_host_device_scalarIfEENS7_IdEENS7_IS3_EEb: ; @_ZN9rocsparseL12csrilu0_hashILj256ELj64ELj8EdEEviPKiS2_PT2_S2_PiS2_S5_S5_d21rocsparse_index_base_imNS_24const_host_device_scalarIfEENS7_IdEENS7_IS3_EEb
; %bb.0:
	s_clause 0x2
	s_load_dword s0, s[4:5], 0x78
	s_load_dwordx2 s[2:3], s[4:5], 0x50
	s_load_dwordx8 s[24:31], s[4:5], 0x58
	s_waitcnt lgkmcnt(0)
	s_bitcmp1_b32 s0, 0
	s_cselect_b32 s0, -1, 0
	s_cmp_eq_u32 s3, 0
	s_cselect_b32 s7, -1, 0
	s_cmp_lg_u32 s3, 0
	s_cselect_b32 s3, -1, 0
	s_or_b32 s9, s7, s0
	s_xor_b32 s8, s9, -1
	s_and_b32 s0, s7, exec_lo
	s_cselect_b32 s1, 0, s29
	s_cselect_b32 s0, 0, s28
	s_and_b32 vcc_lo, exec_lo, s9
	s_cbranch_vccnz .LBB23_2
; %bb.1:
	s_load_dword s0, s[26:27], 0x0
	s_waitcnt lgkmcnt(0)
	v_mov_b32_e32 v19, s0
	s_mov_b64 s[0:1], s[28:29]
	s_branch .LBB23_3
.LBB23_2:
	v_cndmask_b32_e64 v19, s26, 0, s7
.LBB23_3:
	v_mov_b32_e32 v4, s1
	v_cndmask_b32_e64 v1, 0, 1, s8
	v_mov_b32_e32 v3, s0
	s_andn2_b32 vcc_lo, exec_lo, s8
	s_cbranch_vccnz .LBB23_5
; %bb.4:
	v_mov_b32_e32 v2, s28
	v_mov_b32_e32 v3, s29
	flat_load_dwordx2 v[3:4], v[2:3]
.LBB23_5:
	s_and_b32 s0, s7, exec_lo
	s_cselect_b32 s1, 0, s31
	v_cmp_ne_u32_e32 vcc_lo, 1, v1
	s_cselect_b32 s0, 0, s30
	v_mov_b32_e32 v6, s1
	v_mov_b32_e32 v5, s0
	s_mov_b32 s0, 0
	s_cbranch_vccnz .LBB23_7
; %bb.6:
	v_mov_b32_e32 v1, s30
	v_mov_b32_e32 v2, s31
	flat_load_dwordx2 v[5:6], v[1:2]
.LBB23_7:
	v_lshrrev_b32_e32 v1, 6, v0
	v_and_b32_e32 v18, 63, v0
	v_lshlrev_b32_e32 v7, 11, v1
	v_lshlrev_b32_e32 v8, 2, v18
	v_or_b32_e32 v2, 0xffffffc0, v18
	v_or3_b32 v7, v7, v8, 0x2000
	v_mov_b32_e32 v8, -1
.LBB23_8:                               ; =>This Inner Loop Header: Depth=1
	v_add_nc_u32_e32 v2, 64, v2
	ds_write_b32 v7, v8
	v_add_nc_u32_e32 v7, 0x100, v7
	v_cmp_lt_u32_e32 vcc_lo, 0x1bf, v2
	s_or_b32 s0, vcc_lo, s0
	s_andn2_b32 exec_lo, exec_lo, s0
	s_cbranch_execnz .LBB23_8
; %bb.9:
	s_or_b32 exec_lo, exec_lo, s0
	s_load_dword s0, s[4:5], 0x0
	s_lshl_b32 s1, s6, 2
	s_waitcnt vmcnt(0) lgkmcnt(0)
	buffer_gl0_inv
	v_and_or_b32 v1, 0x3fffffc, s1, v1
	v_cmp_gt_i32_e32 vcc_lo, s0, v1
	s_and_saveexec_b32 s0, vcc_lo
	s_cbranch_execz .LBB23_81
; %bb.10:
	s_load_dwordx16 s[8:23], s[4:5], 0x8
	v_lshlrev_b32_e32 v1, 2, v1
	v_lshlrev_b32_e32 v0, 5, v0
	s_mov_b32 s0, exec_lo
	v_and_b32_e32 v0, 0x1800, v0
	v_or_b32_e32 v20, 0x2000, v0
	s_waitcnt lgkmcnt(0)
	global_load_dword v7, v1, s[18:19]
	s_waitcnt vmcnt(0)
	v_ashrrev_i32_e32 v8, 31, v7
	v_lshlrev_b64 v[1:2], 2, v[7:8]
	v_add_co_u32 v8, vcc_lo, s8, v1
	v_add_co_ci_u32_e64 v9, null, s9, v2, vcc_lo
	v_add_co_u32 v11, vcc_lo, s14, v1
	v_add_co_ci_u32_e64 v12, null, s15, v2, vcc_lo
	global_load_dwordx2 v[9:10], v[8:9], off
	global_load_dword v8, v[11:12], off
	s_waitcnt vmcnt(1)
	v_subrev_nc_u32_e32 v9, s2, v9
	v_subrev_nc_u32_e32 v12, s2, v10
	v_add_nc_u32_e32 v10, v9, v18
	v_cmpx_lt_i32_e64 v10, v12
	s_cbranch_execz .LBB23_33
; %bb.11:
	v_mov_b32_e32 v13, -1
	s_mov_b32 s1, 0
	s_branch .LBB23_13
.LBB23_12:                              ;   in Loop: Header=BB23_13 Depth=1
	s_or_b32 exec_lo, exec_lo, s6
	v_add_nc_u32_e32 v10, 64, v10
	v_cmp_ge_i32_e32 vcc_lo, v10, v12
	s_or_b32 s1, vcc_lo, s1
	s_andn2_b32 exec_lo, exec_lo, s1
	s_cbranch_execz .LBB23_33
.LBB23_13:                              ; =>This Loop Header: Depth=1
                                        ;     Child Loop BB23_22 Depth 2
	v_ashrrev_i32_e32 v11, 31, v10
	s_mov_b32 s6, 0
                                        ; implicit-def: $sgpr7
                                        ; implicit-def: $sgpr18
                                        ; implicit-def: $sgpr19
	v_lshlrev_b64 v[14:15], 2, v[10:11]
	v_add_co_u32 v14, vcc_lo, s10, v14
	v_add_co_ci_u32_e64 v15, null, s11, v15, vcc_lo
	global_load_dword v11, v[14:15], off
	v_mov_b32_e32 v14, 0x200
	s_waitcnt vmcnt(0)
	v_mul_lo_u32 v16, 0x67, v11
	s_branch .LBB23_22
.LBB23_14:                              ;   in Loop: Header=BB23_22 Depth=2
	s_or_b32 exec_lo, exec_lo, s36
	s_orn2_b32 s34, s34, exec_lo
	s_orn2_b32 s35, s35, exec_lo
.LBB23_15:                              ;   in Loop: Header=BB23_22 Depth=2
	s_or_b32 exec_lo, exec_lo, s33
	s_and_b32 s34, s34, exec_lo
	s_orn2_b32 s33, s35, exec_lo
.LBB23_16:                              ;   in Loop: Header=BB23_22 Depth=2
	s_or_b32 exec_lo, exec_lo, s31
	s_orn2_b32 s31, s34, exec_lo
	s_orn2_b32 s33, s33, exec_lo
.LBB23_17:                              ;   in Loop: Header=BB23_22 Depth=2
	s_or_b32 exec_lo, exec_lo, s30
	s_and_b32 s31, s31, exec_lo
	s_orn2_b32 s30, s33, exec_lo
.LBB23_18:                              ;   in Loop: Header=BB23_22 Depth=2
	s_or_b32 exec_lo, exec_lo, s29
	s_orn2_b32 s29, s31, exec_lo
	s_orn2_b32 s30, s30, exec_lo
.LBB23_19:                              ;   in Loop: Header=BB23_22 Depth=2
	s_or_b32 exec_lo, exec_lo, s28
	s_and_b32 s29, s29, exec_lo
	s_orn2_b32 s28, s30, exec_lo
.LBB23_20:                              ;   in Loop: Header=BB23_22 Depth=2
	s_or_b32 exec_lo, exec_lo, s27
	s_andn2_b32 s19, s19, exec_lo
	s_and_b32 s27, s29, exec_lo
	s_andn2_b32 s18, s18, exec_lo
	s_and_b32 s28, s28, exec_lo
	s_or_b32 s19, s19, s27
	s_or_b32 s18, s18, s28
.LBB23_21:                              ;   in Loop: Header=BB23_22 Depth=2
	s_or_b32 exec_lo, exec_lo, s26
	s_and_b32 s26, exec_lo, s18
	s_or_b32 s6, s26, s6
	s_andn2_b32 s7, s7, exec_lo
	s_and_b32 s26, s19, exec_lo
	s_or_b32 s7, s7, s26
	s_andn2_b32 exec_lo, exec_lo, s6
	s_cbranch_execz .LBB23_31
.LBB23_22:                              ;   Parent Loop BB23_13 Depth=1
                                        ; =>  This Inner Loop Header: Depth=2
	v_and_b32_e32 v15, 0x1ff, v16
	s_or_b32 s19, s19, exec_lo
	s_or_b32 s18, s18, exec_lo
	s_mov_b32 s26, exec_lo
	v_lshl_add_u32 v17, v15, 2, v20
	ds_read_b32 v21, v17
	s_waitcnt lgkmcnt(0)
	v_cmpx_ne_u32_e64 v21, v11
	s_cbranch_execz .LBB23_21
; %bb.23:                               ;   in Loop: Header=BB23_22 Depth=2
	ds_cmpst_rtn_b32 v17, v17, v13, v11
	s_mov_b32 s28, -1
	s_mov_b32 s29, 0
	s_mov_b32 s27, exec_lo
	s_waitcnt lgkmcnt(0)
	v_cmpx_ne_u32_e32 -1, v17
	s_cbranch_execz .LBB23_20
; %bb.24:                               ;   in Loop: Header=BB23_22 Depth=2
	v_add_nc_u32_e32 v15, 1, v16
	s_mov_b32 s30, -1
	s_mov_b32 s29, -1
	s_mov_b32 s28, exec_lo
	v_and_b32_e32 v15, 0x1ff, v15
	v_lshl_add_u32 v17, v15, 2, v20
	ds_read_b32 v21, v17
	s_waitcnt lgkmcnt(0)
	v_cmpx_ne_u32_e64 v21, v11
	s_cbranch_execz .LBB23_19
; %bb.25:                               ;   in Loop: Header=BB23_22 Depth=2
	ds_cmpst_rtn_b32 v17, v17, v13, v11
	s_mov_b32 s31, 0
	s_mov_b32 s29, exec_lo
	s_waitcnt lgkmcnt(0)
	v_cmpx_ne_u32_e32 -1, v17
	s_cbranch_execz .LBB23_18
; %bb.26:                               ;   in Loop: Header=BB23_22 Depth=2
	v_add_nc_u32_e32 v15, 2, v16
	s_mov_b32 s33, -1
	s_mov_b32 s31, -1
	s_mov_b32 s30, exec_lo
	v_and_b32_e32 v15, 0x1ff, v15
	v_lshl_add_u32 v17, v15, 2, v20
	ds_read_b32 v21, v17
	s_waitcnt lgkmcnt(0)
	v_cmpx_ne_u32_e64 v21, v11
	s_cbranch_execz .LBB23_17
; %bb.27:                               ;   in Loop: Header=BB23_22 Depth=2
	ds_cmpst_rtn_b32 v17, v17, v13, v11
	s_mov_b32 s34, 0
	s_mov_b32 s31, exec_lo
	s_waitcnt lgkmcnt(0)
	v_cmpx_ne_u32_e32 -1, v17
	s_cbranch_execz .LBB23_16
; %bb.28:                               ;   in Loop: Header=BB23_22 Depth=2
	v_add_nc_u32_e32 v15, 3, v16
	s_mov_b32 s35, -1
	s_mov_b32 s34, -1
	v_and_b32_e32 v15, 0x1ff, v15
	v_lshl_add_u32 v17, v15, 2, v20
	ds_read_b32 v16, v17
	s_waitcnt lgkmcnt(0)
	v_cmp_ne_u32_e32 vcc_lo, v16, v11
                                        ; implicit-def: $vgpr16
	s_and_saveexec_b32 s33, vcc_lo
	s_cbranch_execz .LBB23_15
; %bb.29:                               ;   in Loop: Header=BB23_22 Depth=2
	ds_cmpst_rtn_b32 v16, v17, v13, v11
	s_mov_b32 s34, 0
	s_waitcnt lgkmcnt(0)
	v_cmp_ne_u32_e32 vcc_lo, -1, v16
                                        ; implicit-def: $vgpr16
	s_and_saveexec_b32 s36, vcc_lo
	s_cbranch_execz .LBB23_14
; %bb.30:                               ;   in Loop: Header=BB23_22 Depth=2
	v_add_nc_u32_e32 v14, -4, v14
	v_add_nc_u32_e32 v16, 1, v15
	s_mov_b32 s34, exec_lo
	v_cmp_eq_u32_e32 vcc_lo, 0, v14
	s_orn2_b32 s35, vcc_lo, exec_lo
	s_branch .LBB23_14
.LBB23_31:                              ;   in Loop: Header=BB23_13 Depth=1
	s_or_b32 exec_lo, exec_lo, s6
	s_xor_b32 s6, s7, -1
	s_and_saveexec_b32 s7, s6
	s_xor_b32 s6, exec_lo, s7
	s_cbranch_execz .LBB23_12
; %bb.32:                               ;   in Loop: Header=BB23_13 Depth=1
	v_lshl_add_u32 v11, v15, 2, v0
	ds_write_b32 v11, v10
	s_branch .LBB23_12
.LBB23_33:
	s_or_b32 exec_lo, exec_lo, s0
	s_mov_b32 s0, exec_lo
	s_waitcnt vmcnt(0) lgkmcnt(0)
	buffer_gl0_inv
	v_cmpx_lt_i32_e64 v9, v8
	s_cbranch_execz .LBB23_63
; %bb.34:
	v_add_nc_u32_e32 v21, 1, v18
	s_mov_b32 s1, 0
	s_branch .LBB23_37
.LBB23_35:                              ;   in Loop: Header=BB23_37 Depth=1
	s_or_b32 exec_lo, exec_lo, s7
	v_add_nc_u32_e32 v9, 1, v9
	v_cmp_ge_i32_e32 vcc_lo, v9, v8
	s_orn2_b32 s7, vcc_lo, exec_lo
.LBB23_36:                              ;   in Loop: Header=BB23_37 Depth=1
	s_or_b32 exec_lo, exec_lo, s6
	s_and_b32 s6, exec_lo, s7
	s_or_b32 s1, s6, s1
	s_andn2_b32 exec_lo, exec_lo, s1
	s_cbranch_execz .LBB23_63
.LBB23_37:                              ; =>This Loop Header: Depth=1
                                        ;     Child Loop BB23_38 Depth 2
                                        ;     Child Loop BB23_43 Depth 2
                                        ;       Child Loop BB23_52 Depth 3
	v_ashrrev_i32_e32 v10, 31, v9
	s_mov_b32 s6, 0
	v_lshlrev_b64 v[11:12], 2, v[9:10]
	v_lshlrev_b64 v[13:14], 3, v[9:10]
	v_add_co_u32 v11, vcc_lo, s10, v11
	v_add_co_ci_u32_e64 v12, null, s11, v12, vcc_lo
	v_add_co_u32 v13, vcc_lo, s12, v13
	v_add_co_ci_u32_e64 v14, null, s13, v14, vcc_lo
	global_load_dword v11, v[11:12], off
	s_waitcnt vmcnt(0)
	v_subrev_nc_u32_e32 v11, s2, v11
	v_ashrrev_i32_e32 v12, 31, v11
	v_lshlrev_b64 v[15:16], 2, v[11:12]
	v_add_co_u32 v22, vcc_lo, s8, v15
	v_add_co_ci_u32_e64 v23, null, s9, v16, vcc_lo
	v_add_co_u32 v24, vcc_lo, s14, v15
	v_add_co_ci_u32_e64 v25, null, s15, v16, vcc_lo
	global_load_dwordx2 v[10:11], v[13:14], off
	global_load_dword v12, v[22:23], off offset:4
	global_load_dword v17, v[24:25], off
	v_add_co_u32 v15, vcc_lo, s16, v15
	v_add_co_ci_u32_e64 v16, null, s17, v16, vcc_lo
.LBB23_38:                              ;   Parent Loop BB23_37 Depth=1
                                        ; =>  This Inner Loop Header: Depth=2
	global_load_dword v22, v[15:16], off glc dlc
	s_waitcnt vmcnt(0)
	v_cmp_ne_u32_e32 vcc_lo, 0, v22
	s_or_b32 s6, vcc_lo, s6
	s_andn2_b32 exec_lo, exec_lo, s6
	s_cbranch_execnz .LBB23_38
; %bb.39:                               ;   in Loop: Header=BB23_37 Depth=1
	s_or_b32 exec_lo, exec_lo, s6
	v_subrev_nc_u32_e32 v22, s2, v12
	v_cmp_eq_u32_e32 vcc_lo, -1, v17
	buffer_gl1_inv
	buffer_gl0_inv
	s_mov_b32 s7, -1
	s_mov_b32 s6, exec_lo
	v_add_nc_u32_e32 v12, -1, v22
	v_cndmask_b32_e32 v15, v17, v12, vcc_lo
	v_ashrrev_i32_e32 v16, 31, v15
	v_lshlrev_b64 v[16:17], 3, v[15:16]
	v_add_co_u32 v16, vcc_lo, s12, v16
	v_add_co_ci_u32_e64 v17, null, s13, v17, vcc_lo
	global_load_dwordx2 v[16:17], v[16:17], off
	s_waitcnt vmcnt(0)
	v_cmpx_neq_f64_e32 0, v[16:17]
	s_cbranch_execz .LBB23_36
; %bb.40:                               ;   in Loop: Header=BB23_37 Depth=1
	v_div_scale_f64 v[23:24], null, v[16:17], v[16:17], v[10:11]
	v_add_nc_u32_e32 v12, v21, v15
	s_mov_b32 s7, exec_lo
	v_rcp_f64_e32 v[25:26], v[23:24]
	v_fma_f64 v[27:28], -v[23:24], v[25:26], 1.0
	v_fma_f64 v[25:26], v[25:26], v[27:28], v[25:26]
	v_fma_f64 v[27:28], -v[23:24], v[25:26], 1.0
	v_fma_f64 v[25:26], v[25:26], v[27:28], v[25:26]
	v_div_scale_f64 v[27:28], vcc_lo, v[10:11], v[16:17], v[10:11]
	v_mul_f64 v[29:30], v[27:28], v[25:26]
	v_fma_f64 v[23:24], -v[23:24], v[29:30], v[27:28]
	v_div_fmas_f64 v[23:24], v[23:24], v[25:26], v[29:30]
	v_div_fixup_f64 v[10:11], v[23:24], v[16:17], v[10:11]
	global_store_dwordx2 v[13:14], v[10:11], off
	v_cmpx_lt_i32_e64 v12, v22
	s_cbranch_execz .LBB23_35
; %bb.41:                               ;   in Loop: Header=BB23_37 Depth=1
	s_mov_b32 s18, 0
	s_branch .LBB23_43
.LBB23_42:                              ;   in Loop: Header=BB23_43 Depth=2
	s_or_b32 exec_lo, exec_lo, s19
	v_add_nc_u32_e32 v12, 64, v12
	v_cmp_ge_i32_e32 vcc_lo, v12, v22
	s_or_b32 s18, vcc_lo, s18
	s_andn2_b32 exec_lo, exec_lo, s18
	s_cbranch_execz .LBB23_35
.LBB23_43:                              ;   Parent Loop BB23_37 Depth=1
                                        ; =>  This Loop Header: Depth=2
                                        ;       Child Loop BB23_52 Depth 3
	v_ashrrev_i32_e32 v13, 31, v12
	s_mov_b32 s19, 0
                                        ; implicit-def: $sgpr26
                                        ; implicit-def: $sgpr27
                                        ; implicit-def: $sgpr28
	v_lshlrev_b64 v[14:15], 2, v[12:13]
	v_add_co_u32 v14, vcc_lo, s10, v14
	v_add_co_ci_u32_e64 v15, null, s11, v15, vcc_lo
	global_load_dword v14, v[14:15], off
	v_mov_b32_e32 v15, 0x200
	s_waitcnt vmcnt(0)
	v_mul_lo_u32 v17, 0x67, v14
	s_branch .LBB23_52
.LBB23_44:                              ;   in Loop: Header=BB23_52 Depth=3
	s_or_b32 exec_lo, exec_lo, s39
	s_orn2_b32 s37, s37, exec_lo
	s_orn2_b32 s38, s38, exec_lo
.LBB23_45:                              ;   in Loop: Header=BB23_52 Depth=3
	s_or_b32 exec_lo, exec_lo, s36
	s_and_b32 s37, s37, exec_lo
	s_orn2_b32 s36, s38, exec_lo
.LBB23_46:                              ;   in Loop: Header=BB23_52 Depth=3
	s_or_b32 exec_lo, exec_lo, s35
	s_orn2_b32 s35, s37, exec_lo
	s_orn2_b32 s36, s36, exec_lo
.LBB23_47:                              ;   in Loop: Header=BB23_52 Depth=3
	s_or_b32 exec_lo, exec_lo, s34
	s_and_b32 s35, s35, exec_lo
	s_orn2_b32 s34, s36, exec_lo
.LBB23_48:                              ;   in Loop: Header=BB23_52 Depth=3
	s_or_b32 exec_lo, exec_lo, s33
	s_orn2_b32 s33, s35, exec_lo
	s_orn2_b32 s34, s34, exec_lo
.LBB23_49:                              ;   in Loop: Header=BB23_52 Depth=3
	s_or_b32 exec_lo, exec_lo, s31
	s_and_b32 s33, s33, exec_lo
	s_orn2_b32 s31, s34, exec_lo
.LBB23_50:                              ;   in Loop: Header=BB23_52 Depth=3
	s_or_b32 exec_lo, exec_lo, s30
	s_andn2_b32 s28, s28, exec_lo
	s_and_b32 s30, s33, exec_lo
	s_andn2_b32 s27, s27, exec_lo
	s_and_b32 s31, s31, exec_lo
	s_or_b32 s28, s28, s30
	s_or_b32 s27, s27, s31
.LBB23_51:                              ;   in Loop: Header=BB23_52 Depth=3
	s_or_b32 exec_lo, exec_lo, s29
	s_and_b32 s29, exec_lo, s27
	s_or_b32 s19, s29, s19
	s_andn2_b32 s26, s26, exec_lo
	s_and_b32 s29, s28, exec_lo
	s_or_b32 s26, s26, s29
	s_andn2_b32 exec_lo, exec_lo, s19
	s_cbranch_execz .LBB23_61
.LBB23_52:                              ;   Parent Loop BB23_37 Depth=1
                                        ;     Parent Loop BB23_43 Depth=2
                                        ; =>    This Inner Loop Header: Depth=3
	v_and_b32_e32 v16, 0x1ff, v17
	s_or_b32 s28, s28, exec_lo
	s_or_b32 s27, s27, exec_lo
	s_mov_b32 s29, exec_lo
	v_lshl_add_u32 v23, v16, 2, v20
	ds_read_b32 v23, v23
	s_waitcnt lgkmcnt(0)
	v_cmpx_ne_u32_e32 -1, v23
	s_cbranch_execz .LBB23_51
; %bb.53:                               ;   in Loop: Header=BB23_52 Depth=3
	s_mov_b32 s31, -1
	s_mov_b32 s33, 0
	s_mov_b32 s30, exec_lo
	v_cmpx_ne_u32_e64 v23, v14
	s_cbranch_execz .LBB23_50
; %bb.54:                               ;   in Loop: Header=BB23_52 Depth=3
	v_add_nc_u32_e32 v16, 1, v17
	s_mov_b32 s34, -1
	s_mov_b32 s33, -1
	s_mov_b32 s31, exec_lo
	v_and_b32_e32 v16, 0x1ff, v16
	v_lshl_add_u32 v23, v16, 2, v20
	ds_read_b32 v23, v23
	s_waitcnt lgkmcnt(0)
	v_cmpx_ne_u32_e32 -1, v23
	s_cbranch_execz .LBB23_49
; %bb.55:                               ;   in Loop: Header=BB23_52 Depth=3
	s_mov_b32 s35, 0
	s_mov_b32 s33, exec_lo
	v_cmpx_ne_u32_e64 v23, v14
	s_cbranch_execz .LBB23_48
; %bb.56:                               ;   in Loop: Header=BB23_52 Depth=3
	v_add_nc_u32_e32 v16, 2, v17
	s_mov_b32 s36, -1
	s_mov_b32 s35, -1
	s_mov_b32 s34, exec_lo
	v_and_b32_e32 v16, 0x1ff, v16
	v_lshl_add_u32 v23, v16, 2, v20
	ds_read_b32 v23, v23
	s_waitcnt lgkmcnt(0)
	v_cmpx_ne_u32_e32 -1, v23
	s_cbranch_execz .LBB23_47
; %bb.57:                               ;   in Loop: Header=BB23_52 Depth=3
	s_mov_b32 s37, 0
	s_mov_b32 s35, exec_lo
	v_cmpx_ne_u32_e64 v23, v14
	s_cbranch_execz .LBB23_46
; %bb.58:                               ;   in Loop: Header=BB23_52 Depth=3
	v_add_nc_u32_e32 v16, 3, v17
	s_mov_b32 s38, -1
	s_mov_b32 s37, -1
	s_mov_b32 s36, exec_lo
	v_and_b32_e32 v16, 0x1ff, v16
	v_lshl_add_u32 v17, v16, 2, v20
	ds_read_b32 v23, v17
                                        ; implicit-def: $vgpr17
	s_waitcnt lgkmcnt(0)
	v_cmpx_ne_u32_e32 -1, v23
	s_cbranch_execz .LBB23_45
; %bb.59:                               ;   in Loop: Header=BB23_52 Depth=3
	s_mov_b32 s37, 0
	s_mov_b32 s39, exec_lo
                                        ; implicit-def: $vgpr17
	v_cmpx_ne_u32_e64 v23, v14
	s_cbranch_execz .LBB23_44
; %bb.60:                               ;   in Loop: Header=BB23_52 Depth=3
	v_add_nc_u32_e32 v15, -4, v15
	v_add_nc_u32_e32 v17, 1, v16
	s_mov_b32 s37, exec_lo
	v_cmp_eq_u32_e32 vcc_lo, 0, v15
	s_orn2_b32 s38, vcc_lo, exec_lo
	s_branch .LBB23_44
.LBB23_61:                              ;   in Loop: Header=BB23_43 Depth=2
	s_or_b32 exec_lo, exec_lo, s19
	s_xor_b32 s19, s26, -1
	s_and_saveexec_b32 s26, s19
	s_xor_b32 s19, exec_lo, s26
	s_cbranch_execz .LBB23_42
; %bb.62:                               ;   in Loop: Header=BB23_43 Depth=2
	v_lshl_add_u32 v14, v16, 2, v0
	v_lshlrev_b64 v[16:17], 3, v[12:13]
	ds_read_b32 v14, v14
	s_waitcnt lgkmcnt(0)
	v_ashrrev_i32_e32 v15, 31, v14
	v_lshlrev_b64 v[13:14], 3, v[14:15]
	v_add_co_u32 v15, vcc_lo, s12, v16
	v_add_co_ci_u32_e64 v16, null, s13, v17, vcc_lo
	v_add_co_u32 v13, vcc_lo, s12, v13
	v_add_co_ci_u32_e64 v14, null, s13, v14, vcc_lo
	s_clause 0x1
	global_load_dwordx2 v[15:16], v[15:16], off
	global_load_dwordx2 v[23:24], v[13:14], off
	s_waitcnt vmcnt(0)
	v_fma_f64 v[15:16], -v[10:11], v[15:16], v[23:24]
	global_store_dwordx2 v[13:14], v[15:16], off
	s_branch .LBB23_42
.LBB23_63:
	s_or_b32 exec_lo, exec_lo, s0
	s_mov_b32 s6, -1
	s_mov_b32 s1, exec_lo
	s_waitcnt_vscnt null, 0x0
	buffer_gl0_inv
	v_cmpx_lt_i32_e32 -1, v8
	s_cbranch_execz .LBB23_79
; %bb.64:
	v_mov_b32_e32 v9, 0
	v_cmp_eq_u32_e64 s0, 0, v18
	v_lshlrev_b64 v[8:9], 3, v[8:9]
	v_add_co_u32 v12, vcc_lo, s12, v8
	v_add_co_ci_u32_e64 v13, null, s13, v9, vcc_lo
	global_load_dwordx2 v[8:9], v[12:13], off
	s_waitcnt vmcnt(0)
	v_cmp_gt_f64_e32 vcc_lo, 0, v[8:9]
	v_xor_b32_e32 v0, 0x80000000, v9
	v_mov_b32_e32 v10, v8
	v_cndmask_b32_e32 v11, v9, v0, vcc_lo
	s_andn2_b32 vcc_lo, exec_lo, s3
	s_cbranch_vccnz .LBB23_68
; %bb.65:
	v_cvt_f64_f32_e32 v[14:15], v19
	s_cmp_eq_u64 s[24:25], 8
	s_cselect_b32 vcc_lo, -1, 0
	v_cndmask_b32_e32 v4, v15, v4, vcc_lo
	v_cndmask_b32_e32 v3, v14, v3, vcc_lo
	v_cmp_le_f64_e32 vcc_lo, v[10:11], v[3:4]
	s_and_b32 s6, s0, vcc_lo
	s_and_saveexec_b32 s3, s6
	s_cbranch_execz .LBB23_67
; %bb.66:
	global_store_dwordx2 v[12:13], v[5:6], off
	s_waitcnt_vscnt null, 0x0
	buffer_gl1_inv
	buffer_gl0_inv
.LBB23_67:
	s_or_b32 exec_lo, exec_lo, s3
	s_mov_b32 s6, 0
.LBB23_68:
	s_andn2_b32 vcc_lo, exec_lo, s6
	s_cbranch_vccnz .LBB23_79
; %bb.69:
	s_load_dwordx2 s[4:5], s[4:5], 0x48
	v_add_nc_u32_e32 v0, s2, v7
	s_waitcnt lgkmcnt(0)
	v_cmp_ge_f64_e32 vcc_lo, s[4:5], v[10:11]
	s_and_b32 s3, s0, vcc_lo
	s_and_saveexec_b32 s2, s3
	s_cbranch_execz .LBB23_74
; %bb.70:
	s_mov_b32 s4, exec_lo
	s_brev_b32 s3, -2
.LBB23_71:                              ; =>This Inner Loop Header: Depth=1
	s_ff1_i32_b32 s5, s4
	v_readlane_b32 s6, v0, s5
	s_lshl_b32 s5, 1, s5
	s_andn2_b32 s4, s4, s5
	s_min_i32 s3, s3, s6
	s_cmp_lg_u32 s4, 0
	s_cbranch_scc1 .LBB23_71
; %bb.72:
	v_mbcnt_lo_u32_b32 v3, exec_lo, 0
	s_mov_b32 s4, exec_lo
	v_cmpx_eq_u32_e32 0, v3
	s_xor_b32 s4, exec_lo, s4
	s_cbranch_execz .LBB23_74
; %bb.73:
	v_mov_b32_e32 v3, 0
	v_mov_b32_e32 v4, s3
	global_atomic_smin v3, v4, s[22:23]
.LBB23_74:
	s_or_b32 exec_lo, exec_lo, s2
	v_cmp_eq_f64_e32 vcc_lo, 0, v[8:9]
	s_and_b32 s0, s0, vcc_lo
	s_and_b32 exec_lo, exec_lo, s0
	s_cbranch_execz .LBB23_79
; %bb.75:
	s_mov_b32 s2, exec_lo
	s_brev_b32 s0, -2
.LBB23_76:                              ; =>This Inner Loop Header: Depth=1
	s_ff1_i32_b32 s3, s2
	v_readlane_b32 s4, v0, s3
	s_lshl_b32 s3, 1, s3
	s_andn2_b32 s2, s2, s3
	s_min_i32 s0, s0, s4
	s_cmp_lg_u32 s2, 0
	s_cbranch_scc1 .LBB23_76
; %bb.77:
	v_mbcnt_lo_u32_b32 v0, exec_lo, 0
	s_mov_b32 s2, exec_lo
	v_cmpx_eq_u32_e32 0, v0
	s_xor_b32 s2, exec_lo, s2
	s_cbranch_execz .LBB23_79
; %bb.78:
	v_mov_b32_e32 v0, 0
	v_mov_b32_e32 v3, s0
	global_atomic_smin v0, v3, s[20:21]
.LBB23_79:
	s_or_b32 exec_lo, exec_lo, s1
	v_cmp_eq_u32_e32 vcc_lo, 0, v18
	s_waitcnt_vscnt null, 0x0
	buffer_gl1_inv
	buffer_gl0_inv
	s_and_b32 exec_lo, exec_lo, vcc_lo
	s_cbranch_execz .LBB23_81
; %bb.80:
	v_add_co_u32 v0, vcc_lo, s16, v1
	v_add_co_ci_u32_e64 v1, null, s17, v2, vcc_lo
	v_mov_b32_e32 v2, 1
	global_store_dword v[0:1], v2, off
.LBB23_81:
	s_endpgm
	.section	.rodata,"a",@progbits
	.p2align	6, 0x0
	.amdhsa_kernel _ZN9rocsparseL12csrilu0_hashILj256ELj64ELj8EdEEviPKiS2_PT2_S2_PiS2_S5_S5_d21rocsparse_index_base_imNS_24const_host_device_scalarIfEENS7_IdEENS7_IS3_EEb
		.amdhsa_group_segment_fixed_size 16384
		.amdhsa_private_segment_fixed_size 0
		.amdhsa_kernarg_size 124
		.amdhsa_user_sgpr_count 6
		.amdhsa_user_sgpr_private_segment_buffer 1
		.amdhsa_user_sgpr_dispatch_ptr 0
		.amdhsa_user_sgpr_queue_ptr 0
		.amdhsa_user_sgpr_kernarg_segment_ptr 1
		.amdhsa_user_sgpr_dispatch_id 0
		.amdhsa_user_sgpr_flat_scratch_init 0
		.amdhsa_user_sgpr_private_segment_size 0
		.amdhsa_wavefront_size32 1
		.amdhsa_uses_dynamic_stack 0
		.amdhsa_system_sgpr_private_segment_wavefront_offset 0
		.amdhsa_system_sgpr_workgroup_id_x 1
		.amdhsa_system_sgpr_workgroup_id_y 0
		.amdhsa_system_sgpr_workgroup_id_z 0
		.amdhsa_system_sgpr_workgroup_info 0
		.amdhsa_system_vgpr_workitem_id 0
		.amdhsa_next_free_vgpr 31
		.amdhsa_next_free_sgpr 40
		.amdhsa_reserve_vcc 1
		.amdhsa_reserve_flat_scratch 0
		.amdhsa_float_round_mode_32 0
		.amdhsa_float_round_mode_16_64 0
		.amdhsa_float_denorm_mode_32 3
		.amdhsa_float_denorm_mode_16_64 3
		.amdhsa_dx10_clamp 1
		.amdhsa_ieee_mode 1
		.amdhsa_fp16_overflow 0
		.amdhsa_workgroup_processor_mode 1
		.amdhsa_memory_ordered 1
		.amdhsa_forward_progress 1
		.amdhsa_shared_vgpr_count 0
		.amdhsa_exception_fp_ieee_invalid_op 0
		.amdhsa_exception_fp_denorm_src 0
		.amdhsa_exception_fp_ieee_div_zero 0
		.amdhsa_exception_fp_ieee_overflow 0
		.amdhsa_exception_fp_ieee_underflow 0
		.amdhsa_exception_fp_ieee_inexact 0
		.amdhsa_exception_int_div_zero 0
	.end_amdhsa_kernel
	.section	.text._ZN9rocsparseL12csrilu0_hashILj256ELj64ELj8EdEEviPKiS2_PT2_S2_PiS2_S5_S5_d21rocsparse_index_base_imNS_24const_host_device_scalarIfEENS7_IdEENS7_IS3_EEb,"axG",@progbits,_ZN9rocsparseL12csrilu0_hashILj256ELj64ELj8EdEEviPKiS2_PT2_S2_PiS2_S5_S5_d21rocsparse_index_base_imNS_24const_host_device_scalarIfEENS7_IdEENS7_IS3_EEb,comdat
.Lfunc_end23:
	.size	_ZN9rocsparseL12csrilu0_hashILj256ELj64ELj8EdEEviPKiS2_PT2_S2_PiS2_S5_S5_d21rocsparse_index_base_imNS_24const_host_device_scalarIfEENS7_IdEENS7_IS3_EEb, .Lfunc_end23-_ZN9rocsparseL12csrilu0_hashILj256ELj64ELj8EdEEviPKiS2_PT2_S2_PiS2_S5_S5_d21rocsparse_index_base_imNS_24const_host_device_scalarIfEENS7_IdEENS7_IS3_EEb
                                        ; -- End function
	.set _ZN9rocsparseL12csrilu0_hashILj256ELj64ELj8EdEEviPKiS2_PT2_S2_PiS2_S5_S5_d21rocsparse_index_base_imNS_24const_host_device_scalarIfEENS7_IdEENS7_IS3_EEb.num_vgpr, 31
	.set _ZN9rocsparseL12csrilu0_hashILj256ELj64ELj8EdEEviPKiS2_PT2_S2_PiS2_S5_S5_d21rocsparse_index_base_imNS_24const_host_device_scalarIfEENS7_IdEENS7_IS3_EEb.num_agpr, 0
	.set _ZN9rocsparseL12csrilu0_hashILj256ELj64ELj8EdEEviPKiS2_PT2_S2_PiS2_S5_S5_d21rocsparse_index_base_imNS_24const_host_device_scalarIfEENS7_IdEENS7_IS3_EEb.numbered_sgpr, 40
	.set _ZN9rocsparseL12csrilu0_hashILj256ELj64ELj8EdEEviPKiS2_PT2_S2_PiS2_S5_S5_d21rocsparse_index_base_imNS_24const_host_device_scalarIfEENS7_IdEENS7_IS3_EEb.num_named_barrier, 0
	.set _ZN9rocsparseL12csrilu0_hashILj256ELj64ELj8EdEEviPKiS2_PT2_S2_PiS2_S5_S5_d21rocsparse_index_base_imNS_24const_host_device_scalarIfEENS7_IdEENS7_IS3_EEb.private_seg_size, 0
	.set _ZN9rocsparseL12csrilu0_hashILj256ELj64ELj8EdEEviPKiS2_PT2_S2_PiS2_S5_S5_d21rocsparse_index_base_imNS_24const_host_device_scalarIfEENS7_IdEENS7_IS3_EEb.uses_vcc, 1
	.set _ZN9rocsparseL12csrilu0_hashILj256ELj64ELj8EdEEviPKiS2_PT2_S2_PiS2_S5_S5_d21rocsparse_index_base_imNS_24const_host_device_scalarIfEENS7_IdEENS7_IS3_EEb.uses_flat_scratch, 0
	.set _ZN9rocsparseL12csrilu0_hashILj256ELj64ELj8EdEEviPKiS2_PT2_S2_PiS2_S5_S5_d21rocsparse_index_base_imNS_24const_host_device_scalarIfEENS7_IdEENS7_IS3_EEb.has_dyn_sized_stack, 0
	.set _ZN9rocsparseL12csrilu0_hashILj256ELj64ELj8EdEEviPKiS2_PT2_S2_PiS2_S5_S5_d21rocsparse_index_base_imNS_24const_host_device_scalarIfEENS7_IdEENS7_IS3_EEb.has_recursion, 0
	.set _ZN9rocsparseL12csrilu0_hashILj256ELj64ELj8EdEEviPKiS2_PT2_S2_PiS2_S5_S5_d21rocsparse_index_base_imNS_24const_host_device_scalarIfEENS7_IdEENS7_IS3_EEb.has_indirect_call, 0
	.section	.AMDGPU.csdata,"",@progbits
; Kernel info:
; codeLenInByte = 2724
; TotalNumSgprs: 42
; NumVgprs: 31
; ScratchSize: 0
; MemoryBound: 0
; FloatMode: 240
; IeeeMode: 1
; LDSByteSize: 16384 bytes/workgroup (compile time only)
; SGPRBlocks: 0
; VGPRBlocks: 3
; NumSGPRsForWavesPerEU: 42
; NumVGPRsForWavesPerEU: 31
; Occupancy: 16
; WaveLimiterHint : 1
; COMPUTE_PGM_RSRC2:SCRATCH_EN: 0
; COMPUTE_PGM_RSRC2:USER_SGPR: 6
; COMPUTE_PGM_RSRC2:TRAP_HANDLER: 0
; COMPUTE_PGM_RSRC2:TGID_X_EN: 1
; COMPUTE_PGM_RSRC2:TGID_Y_EN: 0
; COMPUTE_PGM_RSRC2:TGID_Z_EN: 0
; COMPUTE_PGM_RSRC2:TIDIG_COMP_CNT: 0
	.section	.text._ZN9rocsparseL12csrilu0_hashILj256ELj64ELj16EdEEviPKiS2_PT2_S2_PiS2_S5_S5_d21rocsparse_index_base_imNS_24const_host_device_scalarIfEENS7_IdEENS7_IS3_EEb,"axG",@progbits,_ZN9rocsparseL12csrilu0_hashILj256ELj64ELj16EdEEviPKiS2_PT2_S2_PiS2_S5_S5_d21rocsparse_index_base_imNS_24const_host_device_scalarIfEENS7_IdEENS7_IS3_EEb,comdat
	.globl	_ZN9rocsparseL12csrilu0_hashILj256ELj64ELj16EdEEviPKiS2_PT2_S2_PiS2_S5_S5_d21rocsparse_index_base_imNS_24const_host_device_scalarIfEENS7_IdEENS7_IS3_EEb ; -- Begin function _ZN9rocsparseL12csrilu0_hashILj256ELj64ELj16EdEEviPKiS2_PT2_S2_PiS2_S5_S5_d21rocsparse_index_base_imNS_24const_host_device_scalarIfEENS7_IdEENS7_IS3_EEb
	.p2align	8
	.type	_ZN9rocsparseL12csrilu0_hashILj256ELj64ELj16EdEEviPKiS2_PT2_S2_PiS2_S5_S5_d21rocsparse_index_base_imNS_24const_host_device_scalarIfEENS7_IdEENS7_IS3_EEb,@function
_ZN9rocsparseL12csrilu0_hashILj256ELj64ELj16EdEEviPKiS2_PT2_S2_PiS2_S5_S5_d21rocsparse_index_base_imNS_24const_host_device_scalarIfEENS7_IdEENS7_IS3_EEb: ; @_ZN9rocsparseL12csrilu0_hashILj256ELj64ELj16EdEEviPKiS2_PT2_S2_PiS2_S5_S5_d21rocsparse_index_base_imNS_24const_host_device_scalarIfEENS7_IdEENS7_IS3_EEb
; %bb.0:
	s_clause 0x2
	s_load_dword s0, s[4:5], 0x78
	s_load_dwordx2 s[2:3], s[4:5], 0x50
	s_load_dwordx8 s[24:31], s[4:5], 0x58
	s_waitcnt lgkmcnt(0)
	s_bitcmp1_b32 s0, 0
	s_cselect_b32 s0, -1, 0
	s_cmp_eq_u32 s3, 0
	s_cselect_b32 s7, -1, 0
	s_cmp_lg_u32 s3, 0
	s_cselect_b32 s3, -1, 0
	s_or_b32 s9, s7, s0
	s_xor_b32 s8, s9, -1
	s_and_b32 s0, s7, exec_lo
	s_cselect_b32 s1, 0, s29
	s_cselect_b32 s0, 0, s28
	s_and_b32 vcc_lo, exec_lo, s9
	s_cbranch_vccnz .LBB24_2
; %bb.1:
	s_load_dword s0, s[26:27], 0x0
	s_waitcnt lgkmcnt(0)
	v_mov_b32_e32 v19, s0
	s_mov_b64 s[0:1], s[28:29]
	s_branch .LBB24_3
.LBB24_2:
	v_cndmask_b32_e64 v19, s26, 0, s7
.LBB24_3:
	v_mov_b32_e32 v4, s1
	v_cndmask_b32_e64 v1, 0, 1, s8
	v_mov_b32_e32 v3, s0
	s_andn2_b32 vcc_lo, exec_lo, s8
	s_cbranch_vccnz .LBB24_5
; %bb.4:
	v_mov_b32_e32 v2, s28
	v_mov_b32_e32 v3, s29
	flat_load_dwordx2 v[3:4], v[2:3]
.LBB24_5:
	s_and_b32 s0, s7, exec_lo
	s_cselect_b32 s1, 0, s31
	v_cmp_ne_u32_e32 vcc_lo, 1, v1
	s_cselect_b32 s0, 0, s30
	v_mov_b32_e32 v6, s1
	v_mov_b32_e32 v5, s0
	s_mov_b32 s0, 0
	s_cbranch_vccnz .LBB24_7
; %bb.6:
	v_mov_b32_e32 v1, s30
	v_mov_b32_e32 v2, s31
	flat_load_dwordx2 v[5:6], v[1:2]
.LBB24_7:
	v_lshrrev_b32_e32 v1, 6, v0
	v_and_b32_e32 v18, 63, v0
	v_lshlrev_b32_e32 v7, 12, v1
	v_lshlrev_b32_e32 v8, 2, v18
	v_or_b32_e32 v2, 0xffffffc0, v18
	v_or3_b32 v7, v7, v8, 0x4000
	v_mov_b32_e32 v8, -1
.LBB24_8:                               ; =>This Inner Loop Header: Depth=1
	v_add_nc_u32_e32 v2, 64, v2
	ds_write_b32 v7, v8
	v_add_nc_u32_e32 v7, 0x100, v7
	v_cmp_lt_u32_e32 vcc_lo, 0x3bf, v2
	s_or_b32 s0, vcc_lo, s0
	s_andn2_b32 exec_lo, exec_lo, s0
	s_cbranch_execnz .LBB24_8
; %bb.9:
	s_or_b32 exec_lo, exec_lo, s0
	s_load_dword s0, s[4:5], 0x0
	s_lshl_b32 s1, s6, 2
	s_waitcnt vmcnt(0) lgkmcnt(0)
	buffer_gl0_inv
	v_and_or_b32 v1, 0x3fffffc, s1, v1
	v_cmp_gt_i32_e32 vcc_lo, s0, v1
	s_and_saveexec_b32 s0, vcc_lo
	s_cbranch_execz .LBB24_81
; %bb.10:
	s_load_dwordx16 s[8:23], s[4:5], 0x8
	v_lshlrev_b32_e32 v1, 2, v1
	v_lshlrev_b32_e32 v0, 6, v0
	s_mov_b32 s0, exec_lo
	v_and_b32_e32 v0, 0x3000, v0
	v_or_b32_e32 v20, 0x4000, v0
	s_waitcnt lgkmcnt(0)
	global_load_dword v7, v1, s[18:19]
	s_waitcnt vmcnt(0)
	v_ashrrev_i32_e32 v8, 31, v7
	v_lshlrev_b64 v[1:2], 2, v[7:8]
	v_add_co_u32 v8, vcc_lo, s8, v1
	v_add_co_ci_u32_e64 v9, null, s9, v2, vcc_lo
	v_add_co_u32 v11, vcc_lo, s14, v1
	v_add_co_ci_u32_e64 v12, null, s15, v2, vcc_lo
	global_load_dwordx2 v[9:10], v[8:9], off
	global_load_dword v8, v[11:12], off
	s_waitcnt vmcnt(1)
	v_subrev_nc_u32_e32 v9, s2, v9
	v_subrev_nc_u32_e32 v12, s2, v10
	v_add_nc_u32_e32 v10, v9, v18
	v_cmpx_lt_i32_e64 v10, v12
	s_cbranch_execz .LBB24_33
; %bb.11:
	v_mov_b32_e32 v13, -1
	s_mov_b32 s1, 0
	s_branch .LBB24_13
.LBB24_12:                              ;   in Loop: Header=BB24_13 Depth=1
	s_or_b32 exec_lo, exec_lo, s6
	v_add_nc_u32_e32 v10, 64, v10
	v_cmp_ge_i32_e32 vcc_lo, v10, v12
	s_or_b32 s1, vcc_lo, s1
	s_andn2_b32 exec_lo, exec_lo, s1
	s_cbranch_execz .LBB24_33
.LBB24_13:                              ; =>This Loop Header: Depth=1
                                        ;     Child Loop BB24_22 Depth 2
	v_ashrrev_i32_e32 v11, 31, v10
	s_mov_b32 s6, 0
                                        ; implicit-def: $sgpr7
                                        ; implicit-def: $sgpr18
                                        ; implicit-def: $sgpr19
	v_lshlrev_b64 v[14:15], 2, v[10:11]
	v_add_co_u32 v14, vcc_lo, s10, v14
	v_add_co_ci_u32_e64 v15, null, s11, v15, vcc_lo
	global_load_dword v11, v[14:15], off
	v_mov_b32_e32 v14, 0x400
	s_waitcnt vmcnt(0)
	v_mul_lo_u32 v16, 0x67, v11
	s_branch .LBB24_22
.LBB24_14:                              ;   in Loop: Header=BB24_22 Depth=2
	s_or_b32 exec_lo, exec_lo, s36
	s_orn2_b32 s34, s34, exec_lo
	s_orn2_b32 s35, s35, exec_lo
.LBB24_15:                              ;   in Loop: Header=BB24_22 Depth=2
	s_or_b32 exec_lo, exec_lo, s33
	s_and_b32 s34, s34, exec_lo
	s_orn2_b32 s33, s35, exec_lo
.LBB24_16:                              ;   in Loop: Header=BB24_22 Depth=2
	s_or_b32 exec_lo, exec_lo, s31
	s_orn2_b32 s31, s34, exec_lo
	s_orn2_b32 s33, s33, exec_lo
.LBB24_17:                              ;   in Loop: Header=BB24_22 Depth=2
	s_or_b32 exec_lo, exec_lo, s30
	s_and_b32 s31, s31, exec_lo
	s_orn2_b32 s30, s33, exec_lo
.LBB24_18:                              ;   in Loop: Header=BB24_22 Depth=2
	s_or_b32 exec_lo, exec_lo, s29
	s_orn2_b32 s29, s31, exec_lo
	s_orn2_b32 s30, s30, exec_lo
.LBB24_19:                              ;   in Loop: Header=BB24_22 Depth=2
	s_or_b32 exec_lo, exec_lo, s28
	s_and_b32 s29, s29, exec_lo
	s_orn2_b32 s28, s30, exec_lo
.LBB24_20:                              ;   in Loop: Header=BB24_22 Depth=2
	s_or_b32 exec_lo, exec_lo, s27
	s_andn2_b32 s19, s19, exec_lo
	s_and_b32 s27, s29, exec_lo
	s_andn2_b32 s18, s18, exec_lo
	s_and_b32 s28, s28, exec_lo
	s_or_b32 s19, s19, s27
	s_or_b32 s18, s18, s28
.LBB24_21:                              ;   in Loop: Header=BB24_22 Depth=2
	s_or_b32 exec_lo, exec_lo, s26
	s_and_b32 s26, exec_lo, s18
	s_or_b32 s6, s26, s6
	s_andn2_b32 s7, s7, exec_lo
	s_and_b32 s26, s19, exec_lo
	s_or_b32 s7, s7, s26
	s_andn2_b32 exec_lo, exec_lo, s6
	s_cbranch_execz .LBB24_31
.LBB24_22:                              ;   Parent Loop BB24_13 Depth=1
                                        ; =>  This Inner Loop Header: Depth=2
	v_and_b32_e32 v15, 0x3ff, v16
	s_or_b32 s19, s19, exec_lo
	s_or_b32 s18, s18, exec_lo
	s_mov_b32 s26, exec_lo
	v_lshl_add_u32 v17, v15, 2, v20
	ds_read_b32 v21, v17
	s_waitcnt lgkmcnt(0)
	v_cmpx_ne_u32_e64 v21, v11
	s_cbranch_execz .LBB24_21
; %bb.23:                               ;   in Loop: Header=BB24_22 Depth=2
	ds_cmpst_rtn_b32 v17, v17, v13, v11
	s_mov_b32 s28, -1
	s_mov_b32 s29, 0
	s_mov_b32 s27, exec_lo
	s_waitcnt lgkmcnt(0)
	v_cmpx_ne_u32_e32 -1, v17
	s_cbranch_execz .LBB24_20
; %bb.24:                               ;   in Loop: Header=BB24_22 Depth=2
	v_add_nc_u32_e32 v15, 1, v16
	s_mov_b32 s30, -1
	s_mov_b32 s29, -1
	s_mov_b32 s28, exec_lo
	v_and_b32_e32 v15, 0x3ff, v15
	v_lshl_add_u32 v17, v15, 2, v20
	ds_read_b32 v21, v17
	s_waitcnt lgkmcnt(0)
	v_cmpx_ne_u32_e64 v21, v11
	s_cbranch_execz .LBB24_19
; %bb.25:                               ;   in Loop: Header=BB24_22 Depth=2
	ds_cmpst_rtn_b32 v17, v17, v13, v11
	s_mov_b32 s31, 0
	s_mov_b32 s29, exec_lo
	s_waitcnt lgkmcnt(0)
	v_cmpx_ne_u32_e32 -1, v17
	s_cbranch_execz .LBB24_18
; %bb.26:                               ;   in Loop: Header=BB24_22 Depth=2
	v_add_nc_u32_e32 v15, 2, v16
	s_mov_b32 s33, -1
	s_mov_b32 s31, -1
	s_mov_b32 s30, exec_lo
	v_and_b32_e32 v15, 0x3ff, v15
	v_lshl_add_u32 v17, v15, 2, v20
	ds_read_b32 v21, v17
	s_waitcnt lgkmcnt(0)
	v_cmpx_ne_u32_e64 v21, v11
	s_cbranch_execz .LBB24_17
; %bb.27:                               ;   in Loop: Header=BB24_22 Depth=2
	ds_cmpst_rtn_b32 v17, v17, v13, v11
	s_mov_b32 s34, 0
	s_mov_b32 s31, exec_lo
	s_waitcnt lgkmcnt(0)
	v_cmpx_ne_u32_e32 -1, v17
	s_cbranch_execz .LBB24_16
; %bb.28:                               ;   in Loop: Header=BB24_22 Depth=2
	v_add_nc_u32_e32 v15, 3, v16
	s_mov_b32 s35, -1
	s_mov_b32 s34, -1
	v_and_b32_e32 v15, 0x3ff, v15
	v_lshl_add_u32 v17, v15, 2, v20
	ds_read_b32 v16, v17
	s_waitcnt lgkmcnt(0)
	v_cmp_ne_u32_e32 vcc_lo, v16, v11
                                        ; implicit-def: $vgpr16
	s_and_saveexec_b32 s33, vcc_lo
	s_cbranch_execz .LBB24_15
; %bb.29:                               ;   in Loop: Header=BB24_22 Depth=2
	ds_cmpst_rtn_b32 v16, v17, v13, v11
	s_mov_b32 s34, 0
	s_waitcnt lgkmcnt(0)
	v_cmp_ne_u32_e32 vcc_lo, -1, v16
                                        ; implicit-def: $vgpr16
	s_and_saveexec_b32 s36, vcc_lo
	s_cbranch_execz .LBB24_14
; %bb.30:                               ;   in Loop: Header=BB24_22 Depth=2
	v_add_nc_u32_e32 v14, -4, v14
	v_add_nc_u32_e32 v16, 1, v15
	s_mov_b32 s34, exec_lo
	v_cmp_eq_u32_e32 vcc_lo, 0, v14
	s_orn2_b32 s35, vcc_lo, exec_lo
	s_branch .LBB24_14
.LBB24_31:                              ;   in Loop: Header=BB24_13 Depth=1
	s_or_b32 exec_lo, exec_lo, s6
	s_xor_b32 s6, s7, -1
	s_and_saveexec_b32 s7, s6
	s_xor_b32 s6, exec_lo, s7
	s_cbranch_execz .LBB24_12
; %bb.32:                               ;   in Loop: Header=BB24_13 Depth=1
	v_lshl_add_u32 v11, v15, 2, v0
	ds_write_b32 v11, v10
	s_branch .LBB24_12
.LBB24_33:
	s_or_b32 exec_lo, exec_lo, s0
	s_mov_b32 s0, exec_lo
	s_waitcnt vmcnt(0) lgkmcnt(0)
	buffer_gl0_inv
	v_cmpx_lt_i32_e64 v9, v8
	s_cbranch_execz .LBB24_63
; %bb.34:
	v_add_nc_u32_e32 v21, 1, v18
	s_mov_b32 s1, 0
	s_branch .LBB24_37
.LBB24_35:                              ;   in Loop: Header=BB24_37 Depth=1
	s_or_b32 exec_lo, exec_lo, s7
	v_add_nc_u32_e32 v9, 1, v9
	v_cmp_ge_i32_e32 vcc_lo, v9, v8
	s_orn2_b32 s7, vcc_lo, exec_lo
.LBB24_36:                              ;   in Loop: Header=BB24_37 Depth=1
	s_or_b32 exec_lo, exec_lo, s6
	s_and_b32 s6, exec_lo, s7
	s_or_b32 s1, s6, s1
	s_andn2_b32 exec_lo, exec_lo, s1
	s_cbranch_execz .LBB24_63
.LBB24_37:                              ; =>This Loop Header: Depth=1
                                        ;     Child Loop BB24_38 Depth 2
                                        ;     Child Loop BB24_43 Depth 2
                                        ;       Child Loop BB24_52 Depth 3
	v_ashrrev_i32_e32 v10, 31, v9
	s_mov_b32 s6, 0
	v_lshlrev_b64 v[11:12], 2, v[9:10]
	v_lshlrev_b64 v[13:14], 3, v[9:10]
	v_add_co_u32 v11, vcc_lo, s10, v11
	v_add_co_ci_u32_e64 v12, null, s11, v12, vcc_lo
	v_add_co_u32 v13, vcc_lo, s12, v13
	v_add_co_ci_u32_e64 v14, null, s13, v14, vcc_lo
	global_load_dword v11, v[11:12], off
	s_waitcnt vmcnt(0)
	v_subrev_nc_u32_e32 v11, s2, v11
	v_ashrrev_i32_e32 v12, 31, v11
	v_lshlrev_b64 v[15:16], 2, v[11:12]
	v_add_co_u32 v22, vcc_lo, s8, v15
	v_add_co_ci_u32_e64 v23, null, s9, v16, vcc_lo
	v_add_co_u32 v24, vcc_lo, s14, v15
	v_add_co_ci_u32_e64 v25, null, s15, v16, vcc_lo
	global_load_dwordx2 v[10:11], v[13:14], off
	global_load_dword v12, v[22:23], off offset:4
	global_load_dword v17, v[24:25], off
	v_add_co_u32 v15, vcc_lo, s16, v15
	v_add_co_ci_u32_e64 v16, null, s17, v16, vcc_lo
.LBB24_38:                              ;   Parent Loop BB24_37 Depth=1
                                        ; =>  This Inner Loop Header: Depth=2
	global_load_dword v22, v[15:16], off glc dlc
	s_waitcnt vmcnt(0)
	v_cmp_ne_u32_e32 vcc_lo, 0, v22
	s_or_b32 s6, vcc_lo, s6
	s_andn2_b32 exec_lo, exec_lo, s6
	s_cbranch_execnz .LBB24_38
; %bb.39:                               ;   in Loop: Header=BB24_37 Depth=1
	s_or_b32 exec_lo, exec_lo, s6
	v_subrev_nc_u32_e32 v22, s2, v12
	v_cmp_eq_u32_e32 vcc_lo, -1, v17
	buffer_gl1_inv
	buffer_gl0_inv
	s_mov_b32 s7, -1
	s_mov_b32 s6, exec_lo
	v_add_nc_u32_e32 v12, -1, v22
	v_cndmask_b32_e32 v15, v17, v12, vcc_lo
	v_ashrrev_i32_e32 v16, 31, v15
	v_lshlrev_b64 v[16:17], 3, v[15:16]
	v_add_co_u32 v16, vcc_lo, s12, v16
	v_add_co_ci_u32_e64 v17, null, s13, v17, vcc_lo
	global_load_dwordx2 v[16:17], v[16:17], off
	s_waitcnt vmcnt(0)
	v_cmpx_neq_f64_e32 0, v[16:17]
	s_cbranch_execz .LBB24_36
; %bb.40:                               ;   in Loop: Header=BB24_37 Depth=1
	v_div_scale_f64 v[23:24], null, v[16:17], v[16:17], v[10:11]
	v_add_nc_u32_e32 v12, v21, v15
	s_mov_b32 s7, exec_lo
	v_rcp_f64_e32 v[25:26], v[23:24]
	v_fma_f64 v[27:28], -v[23:24], v[25:26], 1.0
	v_fma_f64 v[25:26], v[25:26], v[27:28], v[25:26]
	v_fma_f64 v[27:28], -v[23:24], v[25:26], 1.0
	v_fma_f64 v[25:26], v[25:26], v[27:28], v[25:26]
	v_div_scale_f64 v[27:28], vcc_lo, v[10:11], v[16:17], v[10:11]
	v_mul_f64 v[29:30], v[27:28], v[25:26]
	v_fma_f64 v[23:24], -v[23:24], v[29:30], v[27:28]
	v_div_fmas_f64 v[23:24], v[23:24], v[25:26], v[29:30]
	v_div_fixup_f64 v[10:11], v[23:24], v[16:17], v[10:11]
	global_store_dwordx2 v[13:14], v[10:11], off
	v_cmpx_lt_i32_e64 v12, v22
	s_cbranch_execz .LBB24_35
; %bb.41:                               ;   in Loop: Header=BB24_37 Depth=1
	s_mov_b32 s18, 0
	s_branch .LBB24_43
.LBB24_42:                              ;   in Loop: Header=BB24_43 Depth=2
	s_or_b32 exec_lo, exec_lo, s19
	v_add_nc_u32_e32 v12, 64, v12
	v_cmp_ge_i32_e32 vcc_lo, v12, v22
	s_or_b32 s18, vcc_lo, s18
	s_andn2_b32 exec_lo, exec_lo, s18
	s_cbranch_execz .LBB24_35
.LBB24_43:                              ;   Parent Loop BB24_37 Depth=1
                                        ; =>  This Loop Header: Depth=2
                                        ;       Child Loop BB24_52 Depth 3
	v_ashrrev_i32_e32 v13, 31, v12
	s_mov_b32 s19, 0
                                        ; implicit-def: $sgpr26
                                        ; implicit-def: $sgpr27
                                        ; implicit-def: $sgpr28
	v_lshlrev_b64 v[14:15], 2, v[12:13]
	v_add_co_u32 v14, vcc_lo, s10, v14
	v_add_co_ci_u32_e64 v15, null, s11, v15, vcc_lo
	global_load_dword v14, v[14:15], off
	v_mov_b32_e32 v15, 0x400
	s_waitcnt vmcnt(0)
	v_mul_lo_u32 v17, 0x67, v14
	s_branch .LBB24_52
.LBB24_44:                              ;   in Loop: Header=BB24_52 Depth=3
	s_or_b32 exec_lo, exec_lo, s39
	s_orn2_b32 s37, s37, exec_lo
	s_orn2_b32 s38, s38, exec_lo
.LBB24_45:                              ;   in Loop: Header=BB24_52 Depth=3
	s_or_b32 exec_lo, exec_lo, s36
	s_and_b32 s37, s37, exec_lo
	s_orn2_b32 s36, s38, exec_lo
.LBB24_46:                              ;   in Loop: Header=BB24_52 Depth=3
	s_or_b32 exec_lo, exec_lo, s35
	s_orn2_b32 s35, s37, exec_lo
	s_orn2_b32 s36, s36, exec_lo
.LBB24_47:                              ;   in Loop: Header=BB24_52 Depth=3
	s_or_b32 exec_lo, exec_lo, s34
	s_and_b32 s35, s35, exec_lo
	s_orn2_b32 s34, s36, exec_lo
.LBB24_48:                              ;   in Loop: Header=BB24_52 Depth=3
	s_or_b32 exec_lo, exec_lo, s33
	s_orn2_b32 s33, s35, exec_lo
	s_orn2_b32 s34, s34, exec_lo
.LBB24_49:                              ;   in Loop: Header=BB24_52 Depth=3
	s_or_b32 exec_lo, exec_lo, s31
	s_and_b32 s33, s33, exec_lo
	s_orn2_b32 s31, s34, exec_lo
.LBB24_50:                              ;   in Loop: Header=BB24_52 Depth=3
	s_or_b32 exec_lo, exec_lo, s30
	s_andn2_b32 s28, s28, exec_lo
	s_and_b32 s30, s33, exec_lo
	s_andn2_b32 s27, s27, exec_lo
	s_and_b32 s31, s31, exec_lo
	s_or_b32 s28, s28, s30
	s_or_b32 s27, s27, s31
.LBB24_51:                              ;   in Loop: Header=BB24_52 Depth=3
	s_or_b32 exec_lo, exec_lo, s29
	s_and_b32 s29, exec_lo, s27
	s_or_b32 s19, s29, s19
	s_andn2_b32 s26, s26, exec_lo
	s_and_b32 s29, s28, exec_lo
	s_or_b32 s26, s26, s29
	s_andn2_b32 exec_lo, exec_lo, s19
	s_cbranch_execz .LBB24_61
.LBB24_52:                              ;   Parent Loop BB24_37 Depth=1
                                        ;     Parent Loop BB24_43 Depth=2
                                        ; =>    This Inner Loop Header: Depth=3
	v_and_b32_e32 v16, 0x3ff, v17
	s_or_b32 s28, s28, exec_lo
	s_or_b32 s27, s27, exec_lo
	s_mov_b32 s29, exec_lo
	v_lshl_add_u32 v23, v16, 2, v20
	ds_read_b32 v23, v23
	s_waitcnt lgkmcnt(0)
	v_cmpx_ne_u32_e32 -1, v23
	s_cbranch_execz .LBB24_51
; %bb.53:                               ;   in Loop: Header=BB24_52 Depth=3
	s_mov_b32 s31, -1
	s_mov_b32 s33, 0
	s_mov_b32 s30, exec_lo
	v_cmpx_ne_u32_e64 v23, v14
	s_cbranch_execz .LBB24_50
; %bb.54:                               ;   in Loop: Header=BB24_52 Depth=3
	v_add_nc_u32_e32 v16, 1, v17
	s_mov_b32 s34, -1
	s_mov_b32 s33, -1
	s_mov_b32 s31, exec_lo
	v_and_b32_e32 v16, 0x3ff, v16
	v_lshl_add_u32 v23, v16, 2, v20
	ds_read_b32 v23, v23
	s_waitcnt lgkmcnt(0)
	v_cmpx_ne_u32_e32 -1, v23
	s_cbranch_execz .LBB24_49
; %bb.55:                               ;   in Loop: Header=BB24_52 Depth=3
	s_mov_b32 s35, 0
	s_mov_b32 s33, exec_lo
	v_cmpx_ne_u32_e64 v23, v14
	s_cbranch_execz .LBB24_48
; %bb.56:                               ;   in Loop: Header=BB24_52 Depth=3
	v_add_nc_u32_e32 v16, 2, v17
	s_mov_b32 s36, -1
	s_mov_b32 s35, -1
	s_mov_b32 s34, exec_lo
	v_and_b32_e32 v16, 0x3ff, v16
	v_lshl_add_u32 v23, v16, 2, v20
	ds_read_b32 v23, v23
	s_waitcnt lgkmcnt(0)
	v_cmpx_ne_u32_e32 -1, v23
	s_cbranch_execz .LBB24_47
; %bb.57:                               ;   in Loop: Header=BB24_52 Depth=3
	s_mov_b32 s37, 0
	s_mov_b32 s35, exec_lo
	v_cmpx_ne_u32_e64 v23, v14
	s_cbranch_execz .LBB24_46
; %bb.58:                               ;   in Loop: Header=BB24_52 Depth=3
	v_add_nc_u32_e32 v16, 3, v17
	s_mov_b32 s38, -1
	s_mov_b32 s37, -1
	s_mov_b32 s36, exec_lo
	v_and_b32_e32 v16, 0x3ff, v16
	v_lshl_add_u32 v17, v16, 2, v20
	ds_read_b32 v23, v17
                                        ; implicit-def: $vgpr17
	s_waitcnt lgkmcnt(0)
	v_cmpx_ne_u32_e32 -1, v23
	s_cbranch_execz .LBB24_45
; %bb.59:                               ;   in Loop: Header=BB24_52 Depth=3
	s_mov_b32 s37, 0
	s_mov_b32 s39, exec_lo
                                        ; implicit-def: $vgpr17
	v_cmpx_ne_u32_e64 v23, v14
	s_cbranch_execz .LBB24_44
; %bb.60:                               ;   in Loop: Header=BB24_52 Depth=3
	v_add_nc_u32_e32 v15, -4, v15
	v_add_nc_u32_e32 v17, 1, v16
	s_mov_b32 s37, exec_lo
	v_cmp_eq_u32_e32 vcc_lo, 0, v15
	s_orn2_b32 s38, vcc_lo, exec_lo
	s_branch .LBB24_44
.LBB24_61:                              ;   in Loop: Header=BB24_43 Depth=2
	s_or_b32 exec_lo, exec_lo, s19
	s_xor_b32 s19, s26, -1
	s_and_saveexec_b32 s26, s19
	s_xor_b32 s19, exec_lo, s26
	s_cbranch_execz .LBB24_42
; %bb.62:                               ;   in Loop: Header=BB24_43 Depth=2
	v_lshl_add_u32 v14, v16, 2, v0
	v_lshlrev_b64 v[16:17], 3, v[12:13]
	ds_read_b32 v14, v14
	s_waitcnt lgkmcnt(0)
	v_ashrrev_i32_e32 v15, 31, v14
	v_lshlrev_b64 v[13:14], 3, v[14:15]
	v_add_co_u32 v15, vcc_lo, s12, v16
	v_add_co_ci_u32_e64 v16, null, s13, v17, vcc_lo
	v_add_co_u32 v13, vcc_lo, s12, v13
	v_add_co_ci_u32_e64 v14, null, s13, v14, vcc_lo
	s_clause 0x1
	global_load_dwordx2 v[15:16], v[15:16], off
	global_load_dwordx2 v[23:24], v[13:14], off
	s_waitcnt vmcnt(0)
	v_fma_f64 v[15:16], -v[10:11], v[15:16], v[23:24]
	global_store_dwordx2 v[13:14], v[15:16], off
	s_branch .LBB24_42
.LBB24_63:
	s_or_b32 exec_lo, exec_lo, s0
	s_mov_b32 s6, -1
	s_mov_b32 s1, exec_lo
	s_waitcnt_vscnt null, 0x0
	buffer_gl0_inv
	v_cmpx_lt_i32_e32 -1, v8
	s_cbranch_execz .LBB24_79
; %bb.64:
	v_mov_b32_e32 v9, 0
	v_cmp_eq_u32_e64 s0, 0, v18
	v_lshlrev_b64 v[8:9], 3, v[8:9]
	v_add_co_u32 v12, vcc_lo, s12, v8
	v_add_co_ci_u32_e64 v13, null, s13, v9, vcc_lo
	global_load_dwordx2 v[8:9], v[12:13], off
	s_waitcnt vmcnt(0)
	v_cmp_gt_f64_e32 vcc_lo, 0, v[8:9]
	v_xor_b32_e32 v0, 0x80000000, v9
	v_mov_b32_e32 v10, v8
	v_cndmask_b32_e32 v11, v9, v0, vcc_lo
	s_andn2_b32 vcc_lo, exec_lo, s3
	s_cbranch_vccnz .LBB24_68
; %bb.65:
	v_cvt_f64_f32_e32 v[14:15], v19
	s_cmp_eq_u64 s[24:25], 8
	s_cselect_b32 vcc_lo, -1, 0
	v_cndmask_b32_e32 v4, v15, v4, vcc_lo
	v_cndmask_b32_e32 v3, v14, v3, vcc_lo
	v_cmp_le_f64_e32 vcc_lo, v[10:11], v[3:4]
	s_and_b32 s6, s0, vcc_lo
	s_and_saveexec_b32 s3, s6
	s_cbranch_execz .LBB24_67
; %bb.66:
	global_store_dwordx2 v[12:13], v[5:6], off
	s_waitcnt_vscnt null, 0x0
	buffer_gl1_inv
	buffer_gl0_inv
.LBB24_67:
	s_or_b32 exec_lo, exec_lo, s3
	s_mov_b32 s6, 0
.LBB24_68:
	s_andn2_b32 vcc_lo, exec_lo, s6
	s_cbranch_vccnz .LBB24_79
; %bb.69:
	s_load_dwordx2 s[4:5], s[4:5], 0x48
	v_add_nc_u32_e32 v0, s2, v7
	s_waitcnt lgkmcnt(0)
	v_cmp_ge_f64_e32 vcc_lo, s[4:5], v[10:11]
	s_and_b32 s3, s0, vcc_lo
	s_and_saveexec_b32 s2, s3
	s_cbranch_execz .LBB24_74
; %bb.70:
	s_mov_b32 s4, exec_lo
	s_brev_b32 s3, -2
.LBB24_71:                              ; =>This Inner Loop Header: Depth=1
	s_ff1_i32_b32 s5, s4
	v_readlane_b32 s6, v0, s5
	s_lshl_b32 s5, 1, s5
	s_andn2_b32 s4, s4, s5
	s_min_i32 s3, s3, s6
	s_cmp_lg_u32 s4, 0
	s_cbranch_scc1 .LBB24_71
; %bb.72:
	v_mbcnt_lo_u32_b32 v3, exec_lo, 0
	s_mov_b32 s4, exec_lo
	v_cmpx_eq_u32_e32 0, v3
	s_xor_b32 s4, exec_lo, s4
	s_cbranch_execz .LBB24_74
; %bb.73:
	v_mov_b32_e32 v3, 0
	v_mov_b32_e32 v4, s3
	global_atomic_smin v3, v4, s[22:23]
.LBB24_74:
	s_or_b32 exec_lo, exec_lo, s2
	v_cmp_eq_f64_e32 vcc_lo, 0, v[8:9]
	s_and_b32 s0, s0, vcc_lo
	s_and_b32 exec_lo, exec_lo, s0
	s_cbranch_execz .LBB24_79
; %bb.75:
	s_mov_b32 s2, exec_lo
	s_brev_b32 s0, -2
.LBB24_76:                              ; =>This Inner Loop Header: Depth=1
	s_ff1_i32_b32 s3, s2
	v_readlane_b32 s4, v0, s3
	s_lshl_b32 s3, 1, s3
	s_andn2_b32 s2, s2, s3
	s_min_i32 s0, s0, s4
	s_cmp_lg_u32 s2, 0
	s_cbranch_scc1 .LBB24_76
; %bb.77:
	v_mbcnt_lo_u32_b32 v0, exec_lo, 0
	s_mov_b32 s2, exec_lo
	v_cmpx_eq_u32_e32 0, v0
	s_xor_b32 s2, exec_lo, s2
	s_cbranch_execz .LBB24_79
; %bb.78:
	v_mov_b32_e32 v0, 0
	v_mov_b32_e32 v3, s0
	global_atomic_smin v0, v3, s[20:21]
.LBB24_79:
	s_or_b32 exec_lo, exec_lo, s1
	v_cmp_eq_u32_e32 vcc_lo, 0, v18
	s_waitcnt_vscnt null, 0x0
	buffer_gl1_inv
	buffer_gl0_inv
	s_and_b32 exec_lo, exec_lo, vcc_lo
	s_cbranch_execz .LBB24_81
; %bb.80:
	v_add_co_u32 v0, vcc_lo, s16, v1
	v_add_co_ci_u32_e64 v1, null, s17, v2, vcc_lo
	v_mov_b32_e32 v2, 1
	global_store_dword v[0:1], v2, off
.LBB24_81:
	s_endpgm
	.section	.rodata,"a",@progbits
	.p2align	6, 0x0
	.amdhsa_kernel _ZN9rocsparseL12csrilu0_hashILj256ELj64ELj16EdEEviPKiS2_PT2_S2_PiS2_S5_S5_d21rocsparse_index_base_imNS_24const_host_device_scalarIfEENS7_IdEENS7_IS3_EEb
		.amdhsa_group_segment_fixed_size 32768
		.amdhsa_private_segment_fixed_size 0
		.amdhsa_kernarg_size 124
		.amdhsa_user_sgpr_count 6
		.amdhsa_user_sgpr_private_segment_buffer 1
		.amdhsa_user_sgpr_dispatch_ptr 0
		.amdhsa_user_sgpr_queue_ptr 0
		.amdhsa_user_sgpr_kernarg_segment_ptr 1
		.amdhsa_user_sgpr_dispatch_id 0
		.amdhsa_user_sgpr_flat_scratch_init 0
		.amdhsa_user_sgpr_private_segment_size 0
		.amdhsa_wavefront_size32 1
		.amdhsa_uses_dynamic_stack 0
		.amdhsa_system_sgpr_private_segment_wavefront_offset 0
		.amdhsa_system_sgpr_workgroup_id_x 1
		.amdhsa_system_sgpr_workgroup_id_y 0
		.amdhsa_system_sgpr_workgroup_id_z 0
		.amdhsa_system_sgpr_workgroup_info 0
		.amdhsa_system_vgpr_workitem_id 0
		.amdhsa_next_free_vgpr 113
		.amdhsa_next_free_sgpr 40
		.amdhsa_reserve_vcc 1
		.amdhsa_reserve_flat_scratch 0
		.amdhsa_float_round_mode_32 0
		.amdhsa_float_round_mode_16_64 0
		.amdhsa_float_denorm_mode_32 3
		.amdhsa_float_denorm_mode_16_64 3
		.amdhsa_dx10_clamp 1
		.amdhsa_ieee_mode 1
		.amdhsa_fp16_overflow 0
		.amdhsa_workgroup_processor_mode 1
		.amdhsa_memory_ordered 1
		.amdhsa_forward_progress 1
		.amdhsa_shared_vgpr_count 0
		.amdhsa_exception_fp_ieee_invalid_op 0
		.amdhsa_exception_fp_denorm_src 0
		.amdhsa_exception_fp_ieee_div_zero 0
		.amdhsa_exception_fp_ieee_overflow 0
		.amdhsa_exception_fp_ieee_underflow 0
		.amdhsa_exception_fp_ieee_inexact 0
		.amdhsa_exception_int_div_zero 0
	.end_amdhsa_kernel
	.section	.text._ZN9rocsparseL12csrilu0_hashILj256ELj64ELj16EdEEviPKiS2_PT2_S2_PiS2_S5_S5_d21rocsparse_index_base_imNS_24const_host_device_scalarIfEENS7_IdEENS7_IS3_EEb,"axG",@progbits,_ZN9rocsparseL12csrilu0_hashILj256ELj64ELj16EdEEviPKiS2_PT2_S2_PiS2_S5_S5_d21rocsparse_index_base_imNS_24const_host_device_scalarIfEENS7_IdEENS7_IS3_EEb,comdat
.Lfunc_end24:
	.size	_ZN9rocsparseL12csrilu0_hashILj256ELj64ELj16EdEEviPKiS2_PT2_S2_PiS2_S5_S5_d21rocsparse_index_base_imNS_24const_host_device_scalarIfEENS7_IdEENS7_IS3_EEb, .Lfunc_end24-_ZN9rocsparseL12csrilu0_hashILj256ELj64ELj16EdEEviPKiS2_PT2_S2_PiS2_S5_S5_d21rocsparse_index_base_imNS_24const_host_device_scalarIfEENS7_IdEENS7_IS3_EEb
                                        ; -- End function
	.set _ZN9rocsparseL12csrilu0_hashILj256ELj64ELj16EdEEviPKiS2_PT2_S2_PiS2_S5_S5_d21rocsparse_index_base_imNS_24const_host_device_scalarIfEENS7_IdEENS7_IS3_EEb.num_vgpr, 31
	.set _ZN9rocsparseL12csrilu0_hashILj256ELj64ELj16EdEEviPKiS2_PT2_S2_PiS2_S5_S5_d21rocsparse_index_base_imNS_24const_host_device_scalarIfEENS7_IdEENS7_IS3_EEb.num_agpr, 0
	.set _ZN9rocsparseL12csrilu0_hashILj256ELj64ELj16EdEEviPKiS2_PT2_S2_PiS2_S5_S5_d21rocsparse_index_base_imNS_24const_host_device_scalarIfEENS7_IdEENS7_IS3_EEb.numbered_sgpr, 40
	.set _ZN9rocsparseL12csrilu0_hashILj256ELj64ELj16EdEEviPKiS2_PT2_S2_PiS2_S5_S5_d21rocsparse_index_base_imNS_24const_host_device_scalarIfEENS7_IdEENS7_IS3_EEb.num_named_barrier, 0
	.set _ZN9rocsparseL12csrilu0_hashILj256ELj64ELj16EdEEviPKiS2_PT2_S2_PiS2_S5_S5_d21rocsparse_index_base_imNS_24const_host_device_scalarIfEENS7_IdEENS7_IS3_EEb.private_seg_size, 0
	.set _ZN9rocsparseL12csrilu0_hashILj256ELj64ELj16EdEEviPKiS2_PT2_S2_PiS2_S5_S5_d21rocsparse_index_base_imNS_24const_host_device_scalarIfEENS7_IdEENS7_IS3_EEb.uses_vcc, 1
	.set _ZN9rocsparseL12csrilu0_hashILj256ELj64ELj16EdEEviPKiS2_PT2_S2_PiS2_S5_S5_d21rocsparse_index_base_imNS_24const_host_device_scalarIfEENS7_IdEENS7_IS3_EEb.uses_flat_scratch, 0
	.set _ZN9rocsparseL12csrilu0_hashILj256ELj64ELj16EdEEviPKiS2_PT2_S2_PiS2_S5_S5_d21rocsparse_index_base_imNS_24const_host_device_scalarIfEENS7_IdEENS7_IS3_EEb.has_dyn_sized_stack, 0
	.set _ZN9rocsparseL12csrilu0_hashILj256ELj64ELj16EdEEviPKiS2_PT2_S2_PiS2_S5_S5_d21rocsparse_index_base_imNS_24const_host_device_scalarIfEENS7_IdEENS7_IS3_EEb.has_recursion, 0
	.set _ZN9rocsparseL12csrilu0_hashILj256ELj64ELj16EdEEviPKiS2_PT2_S2_PiS2_S5_S5_d21rocsparse_index_base_imNS_24const_host_device_scalarIfEENS7_IdEENS7_IS3_EEb.has_indirect_call, 0
	.section	.AMDGPU.csdata,"",@progbits
; Kernel info:
; codeLenInByte = 2724
; TotalNumSgprs: 42
; NumVgprs: 31
; ScratchSize: 0
; MemoryBound: 0
; FloatMode: 240
; IeeeMode: 1
; LDSByteSize: 32768 bytes/workgroup (compile time only)
; SGPRBlocks: 0
; VGPRBlocks: 14
; NumSGPRsForWavesPerEU: 42
; NumVGPRsForWavesPerEU: 113
; Occupancy: 8
; WaveLimiterHint : 1
; COMPUTE_PGM_RSRC2:SCRATCH_EN: 0
; COMPUTE_PGM_RSRC2:USER_SGPR: 6
; COMPUTE_PGM_RSRC2:TRAP_HANDLER: 0
; COMPUTE_PGM_RSRC2:TGID_X_EN: 1
; COMPUTE_PGM_RSRC2:TGID_Y_EN: 0
; COMPUTE_PGM_RSRC2:TGID_Z_EN: 0
; COMPUTE_PGM_RSRC2:TIDIG_COMP_CNT: 0
	.section	.text._ZN9rocsparseL17csrilu0_binsearchILj256ELj64ELb0EdEEviPKiS2_PT2_S2_PiS2_S5_S5_d21rocsparse_index_base_imNS_24const_host_device_scalarIfEENS7_IdEENS7_IS3_EEb,"axG",@progbits,_ZN9rocsparseL17csrilu0_binsearchILj256ELj64ELb0EdEEviPKiS2_PT2_S2_PiS2_S5_S5_d21rocsparse_index_base_imNS_24const_host_device_scalarIfEENS7_IdEENS7_IS3_EEb,comdat
	.globl	_ZN9rocsparseL17csrilu0_binsearchILj256ELj64ELb0EdEEviPKiS2_PT2_S2_PiS2_S5_S5_d21rocsparse_index_base_imNS_24const_host_device_scalarIfEENS7_IdEENS7_IS3_EEb ; -- Begin function _ZN9rocsparseL17csrilu0_binsearchILj256ELj64ELb0EdEEviPKiS2_PT2_S2_PiS2_S5_S5_d21rocsparse_index_base_imNS_24const_host_device_scalarIfEENS7_IdEENS7_IS3_EEb
	.p2align	8
	.type	_ZN9rocsparseL17csrilu0_binsearchILj256ELj64ELb0EdEEviPKiS2_PT2_S2_PiS2_S5_S5_d21rocsparse_index_base_imNS_24const_host_device_scalarIfEENS7_IdEENS7_IS3_EEb,@function
_ZN9rocsparseL17csrilu0_binsearchILj256ELj64ELb0EdEEviPKiS2_PT2_S2_PiS2_S5_S5_d21rocsparse_index_base_imNS_24const_host_device_scalarIfEENS7_IdEENS7_IS3_EEb: ; @_ZN9rocsparseL17csrilu0_binsearchILj256ELj64ELb0EdEEviPKiS2_PT2_S2_PiS2_S5_S5_d21rocsparse_index_base_imNS_24const_host_device_scalarIfEENS7_IdEENS7_IS3_EEb
; %bb.0:
	s_clause 0x2
	s_load_dword s0, s[4:5], 0x78
	s_load_dwordx2 s[2:3], s[4:5], 0x50
	s_load_dwordx8 s[24:31], s[4:5], 0x58
	s_waitcnt lgkmcnt(0)
	s_bitcmp1_b32 s0, 0
	s_cselect_b32 s0, -1, 0
	s_cmp_eq_u32 s3, 0
	s_cselect_b32 s7, -1, 0
	s_cmp_lg_u32 s3, 0
	s_cselect_b32 s3, -1, 0
	s_or_b32 s9, s7, s0
	s_xor_b32 s8, s9, -1
	s_and_b32 s0, s7, exec_lo
	s_cselect_b32 s1, 0, s29
	s_cselect_b32 s0, 0, s28
	s_and_b32 vcc_lo, exec_lo, s9
	s_cbranch_vccnz .LBB25_2
; %bb.1:
	s_load_dword s0, s[26:27], 0x0
	s_waitcnt lgkmcnt(0)
	v_mov_b32_e32 v18, s0
	s_mov_b64 s[0:1], s[28:29]
	s_branch .LBB25_3
.LBB25_2:
	v_cndmask_b32_e64 v18, s26, 0, s7
.LBB25_3:
	v_mov_b32_e32 v4, s1
	v_cndmask_b32_e64 v1, 0, 1, s8
	v_mov_b32_e32 v3, s0
	s_andn2_b32 vcc_lo, exec_lo, s8
	s_cbranch_vccnz .LBB25_5
; %bb.4:
	v_mov_b32_e32 v2, s28
	v_mov_b32_e32 v3, s29
	flat_load_dwordx2 v[3:4], v[2:3]
.LBB25_5:
	s_and_b32 s0, s7, exec_lo
	s_cselect_b32 s1, 0, s31
	v_cmp_ne_u32_e32 vcc_lo, 1, v1
	s_cselect_b32 s0, 0, s30
	v_mov_b32_e32 v6, s1
	v_mov_b32_e32 v5, s0
	s_cbranch_vccnz .LBB25_7
; %bb.6:
	v_mov_b32_e32 v1, s30
	v_mov_b32_e32 v2, s31
	flat_load_dwordx2 v[5:6], v[1:2]
.LBB25_7:
	s_load_dword s0, s[4:5], 0x0
	v_lshrrev_b32_e32 v1, 6, v0
	s_lshl_b32 s1, s6, 2
	v_and_or_b32 v1, 0x3fffffc, s1, v1
	s_waitcnt lgkmcnt(0)
	v_cmp_gt_i32_e32 vcc_lo, s0, v1
	s_and_saveexec_b32 s0, vcc_lo
	s_cbranch_execz .LBB25_43
; %bb.8:
	s_load_dwordx16 s[8:23], s[4:5], 0x8
	v_lshlrev_b32_e32 v1, 2, v1
	v_and_b32_e32 v0, 63, v0
	s_mov_b32 s0, exec_lo
	s_waitcnt lgkmcnt(0)
	global_load_dword v7, v1, s[18:19]
	s_waitcnt vmcnt(0)
	v_ashrrev_i32_e32 v8, 31, v7
	v_lshlrev_b64 v[1:2], 2, v[7:8]
	v_add_co_u32 v10, vcc_lo, s8, v1
	v_add_co_ci_u32_e64 v11, null, s9, v2, vcc_lo
	v_add_co_u32 v8, vcc_lo, s14, v1
	v_add_co_ci_u32_e64 v9, null, s15, v2, vcc_lo
	global_load_dword v12, v[10:11], off
	global_load_dword v8, v[8:9], off
	s_waitcnt vmcnt(1)
	v_subrev_nc_u32_e32 v9, s2, v12
	s_waitcnt vmcnt(0)
	v_cmpx_lt_i32_e64 v9, v8
	s_cbranch_execz .LBB25_25
; %bb.9:
	global_load_dword v10, v[10:11], off offset:4
	v_add_nc_u32_e32 v19, 1, v0
	s_mov_b32 s1, 0
	s_waitcnt vmcnt(0)
	v_xad_u32 v20, s2, -1, v10
	s_branch .LBB25_12
.LBB25_10:                              ;   in Loop: Header=BB25_12 Depth=1
	s_or_b32 exec_lo, exec_lo, s7
	v_cmp_ge_i32_e32 vcc_lo, v9, v8
	s_orn2_b32 s7, vcc_lo, exec_lo
.LBB25_11:                              ;   in Loop: Header=BB25_12 Depth=1
	s_or_b32 exec_lo, exec_lo, s6
	s_and_b32 s6, exec_lo, s7
	s_or_b32 s1, s6, s1
	s_andn2_b32 exec_lo, exec_lo, s1
	s_cbranch_execz .LBB25_25
.LBB25_12:                              ; =>This Loop Header: Depth=1
                                        ;     Child Loop BB25_14 Depth 2
                                        ;     Child Loop BB25_19 Depth 2
                                        ;       Child Loop BB25_21 Depth 3
	v_ashrrev_i32_e32 v10, 31, v9
	s_mov_b32 s6, exec_lo
	v_lshlrev_b64 v[11:12], 2, v[9:10]
	v_lshlrev_b64 v[13:14], 3, v[9:10]
	v_add_co_u32 v11, vcc_lo, s10, v11
	v_add_co_ci_u32_e64 v12, null, s11, v12, vcc_lo
	v_add_co_u32 v13, vcc_lo, s12, v13
	v_add_co_ci_u32_e64 v14, null, s13, v14, vcc_lo
	global_load_dword v11, v[11:12], off
	s_waitcnt vmcnt(0)
	v_subrev_nc_u32_e32 v11, s2, v11
	v_ashrrev_i32_e32 v12, 31, v11
	v_lshlrev_b64 v[10:11], 2, v[11:12]
	v_add_co_u32 v21, vcc_lo, s8, v10
	v_add_co_ci_u32_e64 v22, null, s9, v11, vcc_lo
	v_add_co_u32 v23, vcc_lo, s14, v10
	v_add_co_ci_u32_e64 v24, null, s15, v11, vcc_lo
	;; [unrolled: 2-line block ×3, first 2 shown]
	global_load_dwordx2 v[10:11], v[13:14], off
	global_load_dword v17, v[21:22], off offset:4
	global_load_dword v12, v[23:24], off
	global_load_dword v21, v[15:16], off glc dlc
	s_waitcnt vmcnt(0)
	v_cmpx_eq_u32_e32 0, v21
	s_cbranch_execz .LBB25_15
; %bb.13:                               ;   in Loop: Header=BB25_12 Depth=1
	s_mov_b32 s7, 0
.LBB25_14:                              ;   Parent Loop BB25_12 Depth=1
                                        ; =>  This Inner Loop Header: Depth=2
	global_load_dword v21, v[15:16], off glc dlc
	s_waitcnt vmcnt(0)
	v_cmp_ne_u32_e32 vcc_lo, 0, v21
	s_or_b32 s7, vcc_lo, s7
	s_andn2_b32 exec_lo, exec_lo, s7
	s_cbranch_execnz .LBB25_14
.LBB25_15:                              ;   in Loop: Header=BB25_12 Depth=1
	s_or_b32 exec_lo, exec_lo, s6
	v_subrev_nc_u32_e32 v21, s2, v17
	v_cmp_eq_u32_e32 vcc_lo, -1, v12
	buffer_gl1_inv
	buffer_gl0_inv
	s_mov_b32 s7, -1
	s_mov_b32 s6, exec_lo
	v_add_nc_u32_e32 v15, -1, v21
	v_cndmask_b32_e32 v15, v12, v15, vcc_lo
	v_ashrrev_i32_e32 v16, 31, v15
	v_lshlrev_b64 v[16:17], 3, v[15:16]
	v_add_co_u32 v16, vcc_lo, s12, v16
	v_add_co_ci_u32_e64 v17, null, s13, v17, vcc_lo
	global_load_dwordx2 v[16:17], v[16:17], off
	s_waitcnt vmcnt(0)
	v_cmpx_neq_f64_e32 0, v[16:17]
	s_xor_b32 s6, exec_lo, s6
	s_cbranch_execz .LBB25_11
; %bb.16:                               ;   in Loop: Header=BB25_12 Depth=1
	v_div_scale_f64 v[22:23], null, v[16:17], v[16:17], v[10:11]
	v_add_nc_u32_e32 v12, v19, v15
	v_add_nc_u32_e32 v9, 1, v9
	s_mov_b32 s7, exec_lo
	v_rcp_f64_e32 v[24:25], v[22:23]
	v_fma_f64 v[26:27], -v[22:23], v[24:25], 1.0
	v_fma_f64 v[24:25], v[24:25], v[26:27], v[24:25]
	v_fma_f64 v[26:27], -v[22:23], v[24:25], 1.0
	v_fma_f64 v[24:25], v[24:25], v[26:27], v[24:25]
	v_div_scale_f64 v[26:27], vcc_lo, v[10:11], v[16:17], v[10:11]
	v_mul_f64 v[28:29], v[26:27], v[24:25]
	v_fma_f64 v[22:23], -v[22:23], v[28:29], v[26:27]
	v_div_fmas_f64 v[22:23], v[22:23], v[24:25], v[28:29]
	v_div_fixup_f64 v[10:11], v[22:23], v[16:17], v[10:11]
	global_store_dwordx2 v[13:14], v[10:11], off
	v_cmpx_lt_i32_e64 v12, v21
	s_cbranch_execz .LBB25_10
; %bb.17:                               ;   in Loop: Header=BB25_12 Depth=1
	v_mov_b32_e32 v14, v9
	s_mov_b32 s18, 0
	s_branch .LBB25_19
.LBB25_18:                              ;   in Loop: Header=BB25_19 Depth=2
	s_or_b32 exec_lo, exec_lo, s19
	v_add_nc_u32_e32 v12, 64, v12
	v_cmp_ge_i32_e32 vcc_lo, v12, v21
	s_or_b32 s18, vcc_lo, s18
	s_andn2_b32 exec_lo, exec_lo, s18
	s_cbranch_execz .LBB25_10
.LBB25_19:                              ;   Parent Loop BB25_12 Depth=1
                                        ; =>  This Loop Header: Depth=2
                                        ;       Child Loop BB25_21 Depth 3
	v_add_nc_u32_e32 v13, v14, v20
	s_mov_b32 s19, exec_lo
	v_ashrrev_i32_e32 v15, 1, v13
	v_ashrrev_i32_e32 v13, 31, v12
	;; [unrolled: 1-line block ×3, first 2 shown]
	v_lshlrev_b64 v[22:23], 2, v[12:13]
	v_lshlrev_b64 v[16:17], 2, v[15:16]
	v_add_co_u32 v22, vcc_lo, s10, v22
	v_add_co_ci_u32_e64 v23, null, s11, v23, vcc_lo
	v_add_co_u32 v24, vcc_lo, s10, v16
	v_add_co_ci_u32_e64 v25, null, s11, v17, vcc_lo
	s_clause 0x1
	global_load_dword v17, v[22:23], off
	global_load_dword v16, v[24:25], off
	v_cmpx_lt_i32_e64 v14, v20
	s_cbranch_execz .LBB25_23
; %bb.20:                               ;   in Loop: Header=BB25_19 Depth=2
	v_mov_b32_e32 v22, v20
	s_mov_b32 s26, 0
	.p2align	6
.LBB25_21:                              ;   Parent Loop BB25_12 Depth=1
                                        ;     Parent Loop BB25_19 Depth=2
                                        ; =>    This Inner Loop Header: Depth=3
	v_add_nc_u32_e32 v23, 1, v15
	s_waitcnt vmcnt(0)
	v_cmp_lt_i32_e32 vcc_lo, v16, v17
	v_cndmask_b32_e32 v22, v15, v22, vcc_lo
	v_cndmask_b32_e32 v14, v14, v23, vcc_lo
	v_add_nc_u32_e32 v15, v22, v14
	v_ashrrev_i32_e32 v15, 1, v15
	v_ashrrev_i32_e32 v16, 31, v15
	v_lshlrev_b64 v[23:24], 2, v[15:16]
	v_add_co_u32 v23, vcc_lo, s10, v23
	v_add_co_ci_u32_e64 v24, null, s11, v24, vcc_lo
	v_cmp_ge_i32_e32 vcc_lo, v14, v22
	global_load_dword v16, v[23:24], off
	s_or_b32 s26, vcc_lo, s26
	s_andn2_b32 exec_lo, exec_lo, s26
	s_cbranch_execnz .LBB25_21
; %bb.22:                               ;   in Loop: Header=BB25_19 Depth=2
	s_or_b32 exec_lo, exec_lo, s26
.LBB25_23:                              ;   in Loop: Header=BB25_19 Depth=2
	s_or_b32 exec_lo, exec_lo, s19
	s_mov_b32 s19, exec_lo
	s_waitcnt vmcnt(0)
	v_cmpx_eq_u32_e64 v16, v17
	s_cbranch_execz .LBB25_18
; %bb.24:                               ;   in Loop: Header=BB25_19 Depth=2
	v_ashrrev_i32_e32 v15, 31, v14
	v_lshlrev_b64 v[16:17], 3, v[12:13]
	v_lshlrev_b64 v[22:23], 3, v[14:15]
	v_add_co_u32 v15, vcc_lo, s12, v16
	v_add_co_ci_u32_e64 v16, null, s13, v17, vcc_lo
	v_add_co_u32 v22, vcc_lo, s12, v22
	v_add_co_ci_u32_e64 v23, null, s13, v23, vcc_lo
	s_clause 0x1
	global_load_dwordx2 v[15:16], v[15:16], off
	global_load_dwordx2 v[24:25], v[22:23], off
	s_waitcnt vmcnt(0)
	v_fma_f64 v[15:16], -v[10:11], v[15:16], v[24:25]
	global_store_dwordx2 v[22:23], v[15:16], off
	s_branch .LBB25_18
.LBB25_25:
	s_or_b32 exec_lo, exec_lo, s0
	s_mov_b32 s6, -1
	s_mov_b32 s1, exec_lo
	s_waitcnt_vscnt null, 0x0
	buffer_gl0_inv
	v_cmpx_lt_i32_e32 -1, v8
	s_cbranch_execz .LBB25_41
; %bb.26:
	v_mov_b32_e32 v9, 0
	v_cmp_eq_u32_e64 s0, 0, v0
	v_lshlrev_b64 v[8:9], 3, v[8:9]
	v_add_co_u32 v10, vcc_lo, s12, v8
	v_add_co_ci_u32_e64 v11, null, s13, v9, vcc_lo
	global_load_dwordx2 v[8:9], v[10:11], off
	s_waitcnt vmcnt(0)
	v_cmp_gt_f64_e32 vcc_lo, 0, v[8:9]
	v_xor_b32_e32 v13, 0x80000000, v9
	v_mov_b32_e32 v12, v8
	v_cndmask_b32_e32 v13, v9, v13, vcc_lo
	s_andn2_b32 vcc_lo, exec_lo, s3
	s_cbranch_vccnz .LBB25_30
; %bb.27:
	v_cvt_f64_f32_e32 v[14:15], v18
	s_cmp_eq_u64 s[24:25], 8
	s_cselect_b32 vcc_lo, -1, 0
	v_cndmask_b32_e32 v4, v15, v4, vcc_lo
	v_cndmask_b32_e32 v3, v14, v3, vcc_lo
	v_cmp_le_f64_e32 vcc_lo, v[12:13], v[3:4]
	s_and_b32 s6, s0, vcc_lo
	s_and_saveexec_b32 s3, s6
	s_cbranch_execz .LBB25_29
; %bb.28:
	global_store_dwordx2 v[10:11], v[5:6], off
.LBB25_29:
	s_or_b32 exec_lo, exec_lo, s3
	s_mov_b32 s6, 0
.LBB25_30:
	s_andn2_b32 vcc_lo, exec_lo, s6
	s_cbranch_vccnz .LBB25_41
; %bb.31:
	s_load_dwordx2 s[4:5], s[4:5], 0x48
	v_add_nc_u32_e32 v3, s2, v7
	s_waitcnt lgkmcnt(0)
	v_cmp_ge_f64_e32 vcc_lo, s[4:5], v[12:13]
	s_and_b32 s3, s0, vcc_lo
	s_and_saveexec_b32 s2, s3
	s_cbranch_execz .LBB25_36
; %bb.32:
	s_mov_b32 s4, exec_lo
	s_brev_b32 s3, -2
.LBB25_33:                              ; =>This Inner Loop Header: Depth=1
	s_ff1_i32_b32 s5, s4
	v_readlane_b32 s6, v3, s5
	s_lshl_b32 s5, 1, s5
	s_andn2_b32 s4, s4, s5
	s_min_i32 s3, s3, s6
	s_cmp_lg_u32 s4, 0
	s_cbranch_scc1 .LBB25_33
; %bb.34:
	v_mbcnt_lo_u32_b32 v4, exec_lo, 0
	s_mov_b32 s4, exec_lo
	v_cmpx_eq_u32_e32 0, v4
	s_xor_b32 s4, exec_lo, s4
	s_cbranch_execz .LBB25_36
; %bb.35:
	v_mov_b32_e32 v4, 0
	v_mov_b32_e32 v5, s3
	global_atomic_smin v4, v5, s[22:23]
.LBB25_36:
	s_or_b32 exec_lo, exec_lo, s2
	v_cmp_eq_f64_e32 vcc_lo, 0, v[8:9]
	s_and_b32 s0, s0, vcc_lo
	s_and_b32 exec_lo, exec_lo, s0
	s_cbranch_execz .LBB25_41
; %bb.37:
	s_mov_b32 s2, exec_lo
	s_brev_b32 s0, -2
.LBB25_38:                              ; =>This Inner Loop Header: Depth=1
	s_ff1_i32_b32 s3, s2
	v_readlane_b32 s4, v3, s3
	s_lshl_b32 s3, 1, s3
	s_andn2_b32 s2, s2, s3
	s_min_i32 s0, s0, s4
	s_cmp_lg_u32 s2, 0
	s_cbranch_scc1 .LBB25_38
; %bb.39:
	v_mbcnt_lo_u32_b32 v3, exec_lo, 0
	s_mov_b32 s2, exec_lo
	v_cmpx_eq_u32_e32 0, v3
	s_xor_b32 s2, exec_lo, s2
	s_cbranch_execz .LBB25_41
; %bb.40:
	v_mov_b32_e32 v3, 0
	v_mov_b32_e32 v4, s0
	global_atomic_smin v3, v4, s[20:21]
.LBB25_41:
	s_or_b32 exec_lo, exec_lo, s1
	v_cmp_eq_u32_e32 vcc_lo, 0, v0
	s_waitcnt_vscnt null, 0x0
	buffer_gl1_inv
	buffer_gl0_inv
	s_and_b32 exec_lo, exec_lo, vcc_lo
	s_cbranch_execz .LBB25_43
; %bb.42:
	v_add_co_u32 v0, vcc_lo, s16, v1
	v_add_co_ci_u32_e64 v1, null, s17, v2, vcc_lo
	v_mov_b32_e32 v2, 1
	global_store_dword v[0:1], v2, off
.LBB25_43:
	s_endpgm
	.section	.rodata,"a",@progbits
	.p2align	6, 0x0
	.amdhsa_kernel _ZN9rocsparseL17csrilu0_binsearchILj256ELj64ELb0EdEEviPKiS2_PT2_S2_PiS2_S5_S5_d21rocsparse_index_base_imNS_24const_host_device_scalarIfEENS7_IdEENS7_IS3_EEb
		.amdhsa_group_segment_fixed_size 0
		.amdhsa_private_segment_fixed_size 0
		.amdhsa_kernarg_size 124
		.amdhsa_user_sgpr_count 6
		.amdhsa_user_sgpr_private_segment_buffer 1
		.amdhsa_user_sgpr_dispatch_ptr 0
		.amdhsa_user_sgpr_queue_ptr 0
		.amdhsa_user_sgpr_kernarg_segment_ptr 1
		.amdhsa_user_sgpr_dispatch_id 0
		.amdhsa_user_sgpr_flat_scratch_init 0
		.amdhsa_user_sgpr_private_segment_size 0
		.amdhsa_wavefront_size32 1
		.amdhsa_uses_dynamic_stack 0
		.amdhsa_system_sgpr_private_segment_wavefront_offset 0
		.amdhsa_system_sgpr_workgroup_id_x 1
		.amdhsa_system_sgpr_workgroup_id_y 0
		.amdhsa_system_sgpr_workgroup_id_z 0
		.amdhsa_system_sgpr_workgroup_info 0
		.amdhsa_system_vgpr_workitem_id 0
		.amdhsa_next_free_vgpr 30
		.amdhsa_next_free_sgpr 32
		.amdhsa_reserve_vcc 1
		.amdhsa_reserve_flat_scratch 0
		.amdhsa_float_round_mode_32 0
		.amdhsa_float_round_mode_16_64 0
		.amdhsa_float_denorm_mode_32 3
		.amdhsa_float_denorm_mode_16_64 3
		.amdhsa_dx10_clamp 1
		.amdhsa_ieee_mode 1
		.amdhsa_fp16_overflow 0
		.amdhsa_workgroup_processor_mode 1
		.amdhsa_memory_ordered 1
		.amdhsa_forward_progress 1
		.amdhsa_shared_vgpr_count 0
		.amdhsa_exception_fp_ieee_invalid_op 0
		.amdhsa_exception_fp_denorm_src 0
		.amdhsa_exception_fp_ieee_div_zero 0
		.amdhsa_exception_fp_ieee_overflow 0
		.amdhsa_exception_fp_ieee_underflow 0
		.amdhsa_exception_fp_ieee_inexact 0
		.amdhsa_exception_int_div_zero 0
	.end_amdhsa_kernel
	.section	.text._ZN9rocsparseL17csrilu0_binsearchILj256ELj64ELb0EdEEviPKiS2_PT2_S2_PiS2_S5_S5_d21rocsparse_index_base_imNS_24const_host_device_scalarIfEENS7_IdEENS7_IS3_EEb,"axG",@progbits,_ZN9rocsparseL17csrilu0_binsearchILj256ELj64ELb0EdEEviPKiS2_PT2_S2_PiS2_S5_S5_d21rocsparse_index_base_imNS_24const_host_device_scalarIfEENS7_IdEENS7_IS3_EEb,comdat
.Lfunc_end25:
	.size	_ZN9rocsparseL17csrilu0_binsearchILj256ELj64ELb0EdEEviPKiS2_PT2_S2_PiS2_S5_S5_d21rocsparse_index_base_imNS_24const_host_device_scalarIfEENS7_IdEENS7_IS3_EEb, .Lfunc_end25-_ZN9rocsparseL17csrilu0_binsearchILj256ELj64ELb0EdEEviPKiS2_PT2_S2_PiS2_S5_S5_d21rocsparse_index_base_imNS_24const_host_device_scalarIfEENS7_IdEENS7_IS3_EEb
                                        ; -- End function
	.set _ZN9rocsparseL17csrilu0_binsearchILj256ELj64ELb0EdEEviPKiS2_PT2_S2_PiS2_S5_S5_d21rocsparse_index_base_imNS_24const_host_device_scalarIfEENS7_IdEENS7_IS3_EEb.num_vgpr, 30
	.set _ZN9rocsparseL17csrilu0_binsearchILj256ELj64ELb0EdEEviPKiS2_PT2_S2_PiS2_S5_S5_d21rocsparse_index_base_imNS_24const_host_device_scalarIfEENS7_IdEENS7_IS3_EEb.num_agpr, 0
	.set _ZN9rocsparseL17csrilu0_binsearchILj256ELj64ELb0EdEEviPKiS2_PT2_S2_PiS2_S5_S5_d21rocsparse_index_base_imNS_24const_host_device_scalarIfEENS7_IdEENS7_IS3_EEb.numbered_sgpr, 32
	.set _ZN9rocsparseL17csrilu0_binsearchILj256ELj64ELb0EdEEviPKiS2_PT2_S2_PiS2_S5_S5_d21rocsparse_index_base_imNS_24const_host_device_scalarIfEENS7_IdEENS7_IS3_EEb.num_named_barrier, 0
	.set _ZN9rocsparseL17csrilu0_binsearchILj256ELj64ELb0EdEEviPKiS2_PT2_S2_PiS2_S5_S5_d21rocsparse_index_base_imNS_24const_host_device_scalarIfEENS7_IdEENS7_IS3_EEb.private_seg_size, 0
	.set _ZN9rocsparseL17csrilu0_binsearchILj256ELj64ELb0EdEEviPKiS2_PT2_S2_PiS2_S5_S5_d21rocsparse_index_base_imNS_24const_host_device_scalarIfEENS7_IdEENS7_IS3_EEb.uses_vcc, 1
	.set _ZN9rocsparseL17csrilu0_binsearchILj256ELj64ELb0EdEEviPKiS2_PT2_S2_PiS2_S5_S5_d21rocsparse_index_base_imNS_24const_host_device_scalarIfEENS7_IdEENS7_IS3_EEb.uses_flat_scratch, 0
	.set _ZN9rocsparseL17csrilu0_binsearchILj256ELj64ELb0EdEEviPKiS2_PT2_S2_PiS2_S5_S5_d21rocsparse_index_base_imNS_24const_host_device_scalarIfEENS7_IdEENS7_IS3_EEb.has_dyn_sized_stack, 0
	.set _ZN9rocsparseL17csrilu0_binsearchILj256ELj64ELb0EdEEviPKiS2_PT2_S2_PiS2_S5_S5_d21rocsparse_index_base_imNS_24const_host_device_scalarIfEENS7_IdEENS7_IS3_EEb.has_recursion, 0
	.set _ZN9rocsparseL17csrilu0_binsearchILj256ELj64ELb0EdEEviPKiS2_PT2_S2_PiS2_S5_S5_d21rocsparse_index_base_imNS_24const_host_device_scalarIfEENS7_IdEENS7_IS3_EEb.has_indirect_call, 0
	.section	.AMDGPU.csdata,"",@progbits
; Kernel info:
; codeLenInByte = 1676
; TotalNumSgprs: 34
; NumVgprs: 30
; ScratchSize: 0
; MemoryBound: 0
; FloatMode: 240
; IeeeMode: 1
; LDSByteSize: 0 bytes/workgroup (compile time only)
; SGPRBlocks: 0
; VGPRBlocks: 3
; NumSGPRsForWavesPerEU: 34
; NumVGPRsForWavesPerEU: 30
; Occupancy: 16
; WaveLimiterHint : 1
; COMPUTE_PGM_RSRC2:SCRATCH_EN: 0
; COMPUTE_PGM_RSRC2:USER_SGPR: 6
; COMPUTE_PGM_RSRC2:TRAP_HANDLER: 0
; COMPUTE_PGM_RSRC2:TGID_X_EN: 1
; COMPUTE_PGM_RSRC2:TGID_Y_EN: 0
; COMPUTE_PGM_RSRC2:TGID_Z_EN: 0
; COMPUTE_PGM_RSRC2:TIDIG_COMP_CNT: 0
	.section	.text._ZN9rocsparseL17csrilu0_binsearchILj256ELj64ELb1E21rocsparse_complex_numIfEEEviPKiS4_PT2_S4_PiS4_S7_S7_d21rocsparse_index_base_imNS_24const_host_device_scalarIfEENS9_IdEENS9_IS5_EEb,"axG",@progbits,_ZN9rocsparseL17csrilu0_binsearchILj256ELj64ELb1E21rocsparse_complex_numIfEEEviPKiS4_PT2_S4_PiS4_S7_S7_d21rocsparse_index_base_imNS_24const_host_device_scalarIfEENS9_IdEENS9_IS5_EEb,comdat
	.globl	_ZN9rocsparseL17csrilu0_binsearchILj256ELj64ELb1E21rocsparse_complex_numIfEEEviPKiS4_PT2_S4_PiS4_S7_S7_d21rocsparse_index_base_imNS_24const_host_device_scalarIfEENS9_IdEENS9_IS5_EEb ; -- Begin function _ZN9rocsparseL17csrilu0_binsearchILj256ELj64ELb1E21rocsparse_complex_numIfEEEviPKiS4_PT2_S4_PiS4_S7_S7_d21rocsparse_index_base_imNS_24const_host_device_scalarIfEENS9_IdEENS9_IS5_EEb
	.p2align	8
	.type	_ZN9rocsparseL17csrilu0_binsearchILj256ELj64ELb1E21rocsparse_complex_numIfEEEviPKiS4_PT2_S4_PiS4_S7_S7_d21rocsparse_index_base_imNS_24const_host_device_scalarIfEENS9_IdEENS9_IS5_EEb,@function
_ZN9rocsparseL17csrilu0_binsearchILj256ELj64ELb1E21rocsparse_complex_numIfEEEviPKiS4_PT2_S4_PiS4_S7_S7_d21rocsparse_index_base_imNS_24const_host_device_scalarIfEENS9_IdEENS9_IS5_EEb: ; @_ZN9rocsparseL17csrilu0_binsearchILj256ELj64ELb1E21rocsparse_complex_numIfEEEviPKiS4_PT2_S4_PiS4_S7_S7_d21rocsparse_index_base_imNS_24const_host_device_scalarIfEENS9_IdEENS9_IS5_EEb
; %bb.0:
	s_clause 0x2
	s_load_dword s0, s[4:5], 0x78
	s_load_dwordx2 s[2:3], s[4:5], 0x50
	s_load_dwordx8 s[24:31], s[4:5], 0x58
	s_waitcnt lgkmcnt(0)
	s_bitcmp1_b32 s0, 0
	s_cselect_b32 s7, -1, 0
	s_cmp_eq_u32 s3, 0
	s_cselect_b32 s9, -1, 0
	s_cmp_lg_u32 s3, 0
	s_cselect_b32 s3, -1, 0
	s_or_b32 s10, s9, s7
	s_xor_b32 s8, s10, -1
	s_and_b32 s0, s9, exec_lo
	s_cselect_b32 s1, 0, s29
	s_cselect_b32 s0, 0, s28
	s_and_b32 vcc_lo, exec_lo, s10
	s_cbranch_vccnz .LBB26_2
; %bb.1:
	s_load_dword s0, s[26:27], 0x0
	s_waitcnt lgkmcnt(0)
	v_mov_b32_e32 v16, s0
	s_mov_b64 s[0:1], s[28:29]
	v_mov_b32_e32 v4, s1
	v_mov_b32_e32 v3, s0
	s_andn2_b32 vcc_lo, exec_lo, s8
	s_cbranch_vccz .LBB26_3
	s_branch .LBB26_4
.LBB26_2:
	v_cndmask_b32_e64 v16, s26, 0, s9
	v_mov_b32_e32 v4, s1
	v_mov_b32_e32 v3, s0
	s_andn2_b32 vcc_lo, exec_lo, s8
	s_cbranch_vccnz .LBB26_4
.LBB26_3:
	v_mov_b32_e32 v1, s28
	v_mov_b32_e32 v2, s29
	flat_load_dwordx2 v[3:4], v[1:2]
.LBB26_4:
	v_cndmask_b32_e64 v17, 0, 1, s3
	s_mov_b32 s1, 0
	s_andn2_b32 vcc_lo, exec_lo, s3
	s_mov_b32 s3, 0
	s_cbranch_vccnz .LBB26_10
; %bb.5:
	s_xor_b32 s0, s7, -1
	s_mov_b32 s1, s30
	v_cndmask_b32_e64 v1, 0, 1, s0
	s_andn2_b32 vcc_lo, exec_lo, s0
	s_cbranch_vccnz .LBB26_7
; %bb.6:
	s_load_dword s1, s[30:31], 0x0
.LBB26_7:
	v_cmp_ne_u32_e32 vcc_lo, 1, v1
	s_cbranch_vccnz .LBB26_9
; %bb.8:
	s_load_dword s31, s[30:31], 0x4
.LBB26_9:
	s_waitcnt lgkmcnt(0)
	s_mov_b32 s3, s31
.LBB26_10:
	s_load_dword s0, s[4:5], 0x0
	v_lshrrev_b32_e32 v1, 6, v0
	s_lshl_b32 s6, s6, 2
	v_and_or_b32 v1, 0x3fffffc, s6, v1
	s_waitcnt lgkmcnt(0)
	v_cmp_gt_i32_e32 vcc_lo, s0, v1
	s_and_saveexec_b32 s0, vcc_lo
	s_cbranch_execz .LBB26_54
; %bb.11:
	s_load_dwordx16 s[8:23], s[4:5], 0x8
	v_lshlrev_b32_e32 v1, 2, v1
	v_and_b32_e32 v0, 63, v0
	s_mov_b32 s6, exec_lo
	s_waitcnt lgkmcnt(0)
	global_load_dword v5, v1, s[18:19]
	s_waitcnt vmcnt(0)
	v_ashrrev_i32_e32 v6, 31, v5
	v_lshlrev_b64 v[1:2], 2, v[5:6]
	v_add_co_u32 v8, vcc_lo, s8, v1
	v_add_co_ci_u32_e64 v9, null, s9, v2, vcc_lo
	v_add_co_u32 v6, vcc_lo, s14, v1
	v_add_co_ci_u32_e64 v7, null, s15, v2, vcc_lo
	global_load_dword v10, v[8:9], off
	global_load_dword v6, v[6:7], off
	s_waitcnt vmcnt(1)
	v_subrev_nc_u32_e32 v7, s2, v10
	s_waitcnt vmcnt(0)
	v_cmpx_lt_i32_e64 v7, v6
	s_cbranch_execz .LBB26_30
; %bb.12:
	global_load_dword v8, v[8:9], off offset:4
	v_add_nc_u32_e32 v18, 1, v0
	s_mov_b32 s7, 0
	s_waitcnt vmcnt(0)
	v_xad_u32 v19, s2, -1, v8
	s_branch .LBB26_15
.LBB26_13:                              ;   in Loop: Header=BB26_15 Depth=1
	s_or_b32 exec_lo, exec_lo, s18
	v_cmp_ge_i32_e32 vcc_lo, v7, v6
	s_orn2_b32 s18, vcc_lo, exec_lo
.LBB26_14:                              ;   in Loop: Header=BB26_15 Depth=1
	s_or_b32 exec_lo, exec_lo, s0
	s_and_b32 s0, exec_lo, s18
	s_or_b32 s7, s0, s7
	s_andn2_b32 exec_lo, exec_lo, s7
	s_cbranch_execz .LBB26_30
.LBB26_15:                              ; =>This Loop Header: Depth=1
                                        ;     Child Loop BB26_18 Depth 2
                                        ;       Child Loop BB26_19 Depth 3
                                        ;     Child Loop BB26_24 Depth 2
                                        ;       Child Loop BB26_26 Depth 3
	v_ashrrev_i32_e32 v8, 31, v7
	s_mov_b32 s0, exec_lo
	v_lshlrev_b64 v[9:10], 2, v[7:8]
	v_lshlrev_b64 v[12:13], 3, v[7:8]
	v_add_co_u32 v9, vcc_lo, s10, v9
	v_add_co_ci_u32_e64 v10, null, s11, v10, vcc_lo
	v_add_co_u32 v12, vcc_lo, s12, v12
	v_add_co_ci_u32_e64 v13, null, s13, v13, vcc_lo
	global_load_dword v9, v[9:10], off
	s_waitcnt vmcnt(0)
	v_subrev_nc_u32_e32 v9, s2, v9
	v_ashrrev_i32_e32 v10, 31, v9
	v_lshlrev_b64 v[8:9], 2, v[9:10]
	v_add_co_u32 v14, vcc_lo, s8, v8
	v_add_co_ci_u32_e64 v15, null, s9, v9, vcc_lo
	v_add_co_u32 v20, vcc_lo, s14, v8
	v_add_co_ci_u32_e64 v21, null, s15, v9, vcc_lo
	;; [unrolled: 2-line block ×3, first 2 shown]
	global_load_dwordx2 v[8:9], v[12:13], off
	global_load_dword v15, v[14:15], off offset:4
	global_load_dword v14, v[20:21], off
	global_load_dword v20, v[10:11], off glc dlc
	s_waitcnt vmcnt(0)
	v_cmpx_eq_u32_e32 0, v20
	s_cbranch_execz .LBB26_20
; %bb.16:                               ;   in Loop: Header=BB26_15 Depth=1
	s_mov_b32 s18, 0
	s_mov_b32 s19, 0
	s_branch .LBB26_18
	.p2align	6
.LBB26_17:                              ;   in Loop: Header=BB26_18 Depth=2
	global_load_dword v20, v[10:11], off glc dlc
	s_cmpk_lt_u32 s19, 0xf43
	s_cselect_b32 s26, -1, 0
	s_cmp_lg_u32 s26, 0
	s_addc_u32 s19, s19, 0
	s_waitcnt vmcnt(0)
	v_cmp_ne_u32_e32 vcc_lo, 0, v20
	s_or_b32 s18, vcc_lo, s18
	s_andn2_b32 exec_lo, exec_lo, s18
	s_cbranch_execz .LBB26_20
.LBB26_18:                              ;   Parent Loop BB26_15 Depth=1
                                        ; =>  This Loop Header: Depth=2
                                        ;       Child Loop BB26_19 Depth 3
	s_cmp_eq_u32 s19, 0
	s_mov_b32 s26, s19
	s_cbranch_scc1 .LBB26_17
.LBB26_19:                              ;   Parent Loop BB26_15 Depth=1
                                        ;     Parent Loop BB26_18 Depth=2
                                        ; =>    This Inner Loop Header: Depth=3
	s_add_i32 s26, s26, -1
	s_sleep 1
	s_cmp_eq_u32 s26, 0
	s_cbranch_scc0 .LBB26_19
	s_branch .LBB26_17
.LBB26_20:                              ;   in Loop: Header=BB26_15 Depth=1
	s_or_b32 exec_lo, exec_lo, s0
	v_subrev_nc_u32_e32 v20, s2, v15
	v_cmp_eq_u32_e32 vcc_lo, -1, v14
	buffer_gl1_inv
	buffer_gl0_inv
	s_mov_b32 s18, -1
	v_add_nc_u32_e32 v10, -1, v20
	v_cndmask_b32_e32 v10, v14, v10, vcc_lo
	v_ashrrev_i32_e32 v11, 31, v10
	v_lshlrev_b64 v[14:15], 3, v[10:11]
	v_add_co_u32 v14, vcc_lo, s12, v14
	v_add_co_ci_u32_e64 v15, null, s13, v15, vcc_lo
	global_load_dwordx2 v[14:15], v[14:15], off
	s_waitcnt vmcnt(0)
	v_cmp_neq_f32_e32 vcc_lo, 0, v14
	v_cmp_neq_f32_e64 s0, 0, v15
	s_or_b32 s0, vcc_lo, s0
	s_and_saveexec_b32 s19, s0
	s_xor_b32 s0, exec_lo, s19
	s_cbranch_execz .LBB26_14
; %bb.21:                               ;   in Loop: Header=BB26_15 Depth=1
	v_mul_f32_e32 v11, v15, v15
	v_add_nc_u32_e32 v7, 1, v7
	s_mov_b32 s18, exec_lo
	v_fmac_f32_e32 v11, v14, v14
	v_div_scale_f32 v21, null, v11, v11, 1.0
	v_div_scale_f32 v24, vcc_lo, 1.0, v11, 1.0
	v_rcp_f32_e32 v22, v21
	v_fma_f32 v23, -v21, v22, 1.0
	v_fmac_f32_e32 v22, v23, v22
	v_mul_f32_e32 v23, v24, v22
	v_fma_f32 v25, -v21, v23, v24
	v_fmac_f32_e32 v23, v25, v22
	v_fma_f32 v21, -v21, v23, v24
	v_mul_f32_e32 v24, v9, v15
	v_mul_f32_e64 v15, v15, -v8
	v_div_fmas_f32 v21, v21, v22, v23
	v_fmac_f32_e32 v24, v8, v14
	v_fmac_f32_e32 v15, v9, v14
	v_add_nc_u32_e32 v8, v18, v10
	v_div_fixup_f32 v11, v21, v11, 1.0
	v_mul_f32_e32 v10, v24, v11
	v_mul_f32_e32 v11, v15, v11
	global_store_dwordx2 v[12:13], v[10:11], off
	v_cmpx_lt_i32_e64 v8, v20
	s_cbranch_execz .LBB26_13
; %bb.22:                               ;   in Loop: Header=BB26_15 Depth=1
	v_mov_b32_e32 v12, v7
	s_mov_b32 s19, 0
	s_branch .LBB26_24
.LBB26_23:                              ;   in Loop: Header=BB26_24 Depth=2
	s_or_b32 exec_lo, exec_lo, s26
	v_add_nc_u32_e32 v8, 64, v8
	v_cmp_ge_i32_e32 vcc_lo, v8, v20
	s_or_b32 s19, vcc_lo, s19
	s_andn2_b32 exec_lo, exec_lo, s19
	s_cbranch_execz .LBB26_13
.LBB26_24:                              ;   Parent Loop BB26_15 Depth=1
                                        ; =>  This Loop Header: Depth=2
                                        ;       Child Loop BB26_26 Depth 3
	v_add_nc_u32_e32 v9, v12, v19
	s_mov_b32 s26, exec_lo
	v_ashrrev_i32_e32 v13, 1, v9
	v_ashrrev_i32_e32 v9, 31, v8
	;; [unrolled: 1-line block ×3, first 2 shown]
	v_lshlrev_b64 v[21:22], 2, v[8:9]
	v_lshlrev_b64 v[14:15], 2, v[13:14]
	v_add_co_u32 v21, vcc_lo, s10, v21
	v_add_co_ci_u32_e64 v22, null, s11, v22, vcc_lo
	v_add_co_u32 v23, vcc_lo, s10, v14
	v_add_co_ci_u32_e64 v24, null, s11, v15, vcc_lo
	s_clause 0x1
	global_load_dword v15, v[21:22], off
	global_load_dword v14, v[23:24], off
	v_cmpx_lt_i32_e64 v12, v19
	s_cbranch_execz .LBB26_28
; %bb.25:                               ;   in Loop: Header=BB26_24 Depth=2
	v_mov_b32_e32 v21, v19
	s_mov_b32 s27, 0
	.p2align	6
.LBB26_26:                              ;   Parent Loop BB26_15 Depth=1
                                        ;     Parent Loop BB26_24 Depth=2
                                        ; =>    This Inner Loop Header: Depth=3
	v_add_nc_u32_e32 v22, 1, v13
	s_waitcnt vmcnt(0)
	v_cmp_lt_i32_e32 vcc_lo, v14, v15
	v_cndmask_b32_e32 v21, v13, v21, vcc_lo
	v_cndmask_b32_e32 v12, v12, v22, vcc_lo
	v_add_nc_u32_e32 v13, v21, v12
	v_ashrrev_i32_e32 v13, 1, v13
	v_ashrrev_i32_e32 v14, 31, v13
	v_lshlrev_b64 v[22:23], 2, v[13:14]
	v_add_co_u32 v22, vcc_lo, s10, v22
	v_add_co_ci_u32_e64 v23, null, s11, v23, vcc_lo
	v_cmp_ge_i32_e32 vcc_lo, v12, v21
	global_load_dword v14, v[22:23], off
	s_or_b32 s27, vcc_lo, s27
	s_andn2_b32 exec_lo, exec_lo, s27
	s_cbranch_execnz .LBB26_26
; %bb.27:                               ;   in Loop: Header=BB26_24 Depth=2
	s_or_b32 exec_lo, exec_lo, s27
.LBB26_28:                              ;   in Loop: Header=BB26_24 Depth=2
	s_or_b32 exec_lo, exec_lo, s26
	s_mov_b32 s26, exec_lo
	s_waitcnt vmcnt(0)
	v_cmpx_eq_u32_e64 v14, v15
	s_cbranch_execz .LBB26_23
; %bb.29:                               ;   in Loop: Header=BB26_24 Depth=2
	v_ashrrev_i32_e32 v13, 31, v12
	v_lshlrev_b64 v[14:15], 3, v[8:9]
	v_lshlrev_b64 v[21:22], 3, v[12:13]
	v_add_co_u32 v13, vcc_lo, s12, v14
	v_add_co_ci_u32_e64 v14, null, s13, v15, vcc_lo
	v_add_co_u32 v21, vcc_lo, s12, v21
	v_add_co_ci_u32_e64 v22, null, s13, v22, vcc_lo
	s_clause 0x1
	global_load_dwordx2 v[13:14], v[13:14], off
	global_load_dwordx2 v[23:24], v[21:22], off
	s_waitcnt vmcnt(0)
	v_fma_f32 v23, -v10, v13, v23
	v_fma_f32 v9, -v11, v13, v24
	v_fmac_f32_e32 v23, v11, v14
	v_fma_f32 v24, -v10, v14, v9
	global_store_dwordx2 v[21:22], v[23:24], off
	s_branch .LBB26_23
.LBB26_30:
	s_or_b32 exec_lo, exec_lo, s6
	s_mov_b32 s6, exec_lo
	s_waitcnt_vscnt null, 0x0
	buffer_gl0_inv
	v_cmpx_lt_i32_e32 -1, v6
	s_cbranch_execz .LBB26_52
; %bb.31:
	v_mov_b32_e32 v7, 0
	s_mov_b32 s0, exec_lo
	v_lshlrev_b64 v[8:9], 3, v[6:7]
	v_add_co_u32 v10, vcc_lo, s12, v8
	v_add_co_ci_u32_e64 v11, null, s13, v9, vcc_lo
	global_load_dwordx2 v[8:9], v[10:11], off
	s_waitcnt vmcnt(0)
	v_cmp_gt_f32_e32 vcc_lo, 0, v8
	v_cndmask_b32_e64 v6, v8, -v8, vcc_lo
	v_cmp_gt_f32_e32 vcc_lo, 0, v9
	v_cndmask_b32_e64 v12, v9, -v9, vcc_lo
	v_cmpx_ngt_f32_e32 v6, v12
	s_xor_b32 s7, exec_lo, s0
	s_cbranch_execz .LBB26_35
; %bb.32:
	s_mov_b32 s8, exec_lo
	v_cmpx_neq_f32_e32 0, v9
	s_cbranch_execz .LBB26_34
; %bb.33:
	v_div_scale_f32 v7, null, v12, v12, v6
	v_div_scale_f32 v15, vcc_lo, v6, v12, v6
	v_rcp_f32_e32 v13, v7
	v_fma_f32 v14, -v7, v13, 1.0
	v_fmac_f32_e32 v13, v14, v13
	v_mul_f32_e32 v14, v15, v13
	v_fma_f32 v18, -v7, v14, v15
	v_fmac_f32_e32 v14, v18, v13
	v_fma_f32 v7, -v7, v14, v15
	v_div_fmas_f32 v7, v7, v13, v14
	v_div_fixup_f32 v6, v7, v12, v6
	v_fma_f32 v6, v6, v6, 1.0
	v_mul_f32_e32 v7, 0x4f800000, v6
	v_cmp_gt_f32_e32 vcc_lo, 0xf800000, v6
	v_cndmask_b32_e32 v6, v6, v7, vcc_lo
	v_sqrt_f32_e32 v7, v6
	v_add_nc_u32_e32 v13, -1, v7
	v_add_nc_u32_e32 v14, 1, v7
	v_fma_f32 v15, -v13, v7, v6
	v_fma_f32 v18, -v14, v7, v6
	v_cmp_ge_f32_e64 s0, 0, v15
	v_cndmask_b32_e64 v7, v7, v13, s0
	v_cmp_lt_f32_e64 s0, 0, v18
	v_cndmask_b32_e64 v7, v7, v14, s0
	v_mul_f32_e32 v13, 0x37800000, v7
	v_cndmask_b32_e32 v7, v7, v13, vcc_lo
	v_cmp_class_f32_e64 vcc_lo, v6, 0x260
	v_cndmask_b32_e32 v6, v7, v6, vcc_lo
	v_mul_f32_e32 v7, v12, v6
.LBB26_34:
	s_or_b32 exec_lo, exec_lo, s8
                                        ; implicit-def: $vgpr6
                                        ; implicit-def: $vgpr12
.LBB26_35:
	s_andn2_saveexec_b32 s7, s7
	s_cbranch_execz .LBB26_37
; %bb.36:
	v_div_scale_f32 v7, null, v6, v6, v12
	v_div_scale_f32 v15, vcc_lo, v12, v6, v12
	v_rcp_f32_e32 v13, v7
	v_fma_f32 v14, -v7, v13, 1.0
	v_fmac_f32_e32 v13, v14, v13
	v_mul_f32_e32 v14, v15, v13
	v_fma_f32 v18, -v7, v14, v15
	v_fmac_f32_e32 v14, v18, v13
	v_fma_f32 v7, -v7, v14, v15
	v_div_fmas_f32 v7, v7, v13, v14
	v_div_fixup_f32 v7, v7, v6, v12
	v_fma_f32 v7, v7, v7, 1.0
	v_mul_f32_e32 v12, 0x4f800000, v7
	v_cmp_gt_f32_e32 vcc_lo, 0xf800000, v7
	v_cndmask_b32_e32 v7, v7, v12, vcc_lo
	v_sqrt_f32_e32 v12, v7
	v_add_nc_u32_e32 v13, -1, v12
	v_add_nc_u32_e32 v14, 1, v12
	v_fma_f32 v15, -v13, v12, v7
	v_fma_f32 v18, -v14, v12, v7
	v_cmp_ge_f32_e64 s0, 0, v15
	v_cndmask_b32_e64 v12, v12, v13, s0
	v_cmp_lt_f32_e64 s0, 0, v18
	v_cndmask_b32_e64 v12, v12, v14, s0
	v_mul_f32_e32 v13, 0x37800000, v12
	v_cndmask_b32_e32 v12, v12, v13, vcc_lo
	v_cmp_class_f32_e64 vcc_lo, v7, 0x260
	v_cndmask_b32_e32 v7, v12, v7, vcc_lo
	v_mul_f32_e32 v7, v6, v7
.LBB26_37:
	s_or_b32 exec_lo, exec_lo, s7
	v_cvt_f64_f32_e32 v[6:7], v7
	v_cmp_ne_u32_e32 vcc_lo, 1, v17
	v_cmp_eq_u32_e64 s0, 0, v0
	s_mov_b32 s7, -1
	s_cbranch_vccnz .LBB26_41
; %bb.38:
	v_cvt_f64_f32_e32 v[12:13], v16
	s_cmp_eq_u64 s[24:25], 8
	s_cselect_b32 vcc_lo, -1, 0
	v_cndmask_b32_e32 v4, v13, v4, vcc_lo
	v_cndmask_b32_e32 v3, v12, v3, vcc_lo
	v_cmp_ge_f64_e32 vcc_lo, v[3:4], v[6:7]
	s_and_b32 s8, s0, vcc_lo
	s_and_saveexec_b32 s7, s8
	s_cbranch_execz .LBB26_40
; %bb.39:
	v_mov_b32_e32 v3, s1
	v_mov_b32_e32 v4, s3
	global_store_dwordx2 v[10:11], v[3:4], off
.LBB26_40:
	s_or_b32 exec_lo, exec_lo, s7
	s_mov_b32 s7, 0
.LBB26_41:
	s_andn2_b32 vcc_lo, exec_lo, s7
	s_cbranch_vccnz .LBB26_52
; %bb.42:
	s_load_dwordx2 s[4:5], s[4:5], 0x48
	v_add_nc_u32_e32 v3, s2, v5
	s_waitcnt lgkmcnt(0)
	v_cmp_ge_f64_e32 vcc_lo, s[4:5], v[6:7]
	s_and_b32 s2, s0, vcc_lo
	s_and_saveexec_b32 s1, s2
	s_cbranch_execz .LBB26_47
; %bb.43:
	s_mov_b32 s3, exec_lo
	s_brev_b32 s2, -2
.LBB26_44:                              ; =>This Inner Loop Header: Depth=1
	s_ff1_i32_b32 s4, s3
	v_readlane_b32 s5, v3, s4
	s_lshl_b32 s4, 1, s4
	s_andn2_b32 s3, s3, s4
	s_min_i32 s2, s2, s5
	s_cmp_lg_u32 s3, 0
	s_cbranch_scc1 .LBB26_44
; %bb.45:
	v_mbcnt_lo_u32_b32 v4, exec_lo, 0
	s_mov_b32 s3, exec_lo
	v_cmpx_eq_u32_e32 0, v4
	s_xor_b32 s3, exec_lo, s3
	s_cbranch_execz .LBB26_47
; %bb.46:
	v_mov_b32_e32 v4, 0
	v_mov_b32_e32 v5, s2
	global_atomic_smin v4, v5, s[22:23]
.LBB26_47:
	s_or_b32 exec_lo, exec_lo, s1
	v_cmp_eq_f32_e32 vcc_lo, 0, v8
	v_cmp_eq_f32_e64 s1, 0, v9
	s_and_b32 s1, vcc_lo, s1
	s_and_b32 s0, s0, s1
	s_and_b32 exec_lo, exec_lo, s0
	s_cbranch_execz .LBB26_52
; %bb.48:
	s_mov_b32 s1, exec_lo
	s_brev_b32 s0, -2
.LBB26_49:                              ; =>This Inner Loop Header: Depth=1
	s_ff1_i32_b32 s2, s1
	v_readlane_b32 s3, v3, s2
	s_lshl_b32 s2, 1, s2
	s_andn2_b32 s1, s1, s2
	s_min_i32 s0, s0, s3
	s_cmp_lg_u32 s1, 0
	s_cbranch_scc1 .LBB26_49
; %bb.50:
	v_mbcnt_lo_u32_b32 v3, exec_lo, 0
	s_mov_b32 s1, exec_lo
	v_cmpx_eq_u32_e32 0, v3
	s_xor_b32 s1, exec_lo, s1
	s_cbranch_execz .LBB26_52
; %bb.51:
	v_mov_b32_e32 v3, 0
	v_mov_b32_e32 v4, s0
	global_atomic_smin v3, v4, s[20:21]
.LBB26_52:
	s_or_b32 exec_lo, exec_lo, s6
	v_cmp_eq_u32_e32 vcc_lo, 0, v0
	s_waitcnt_vscnt null, 0x0
	buffer_gl1_inv
	buffer_gl0_inv
	s_and_b32 exec_lo, exec_lo, vcc_lo
	s_cbranch_execz .LBB26_54
; %bb.53:
	v_add_co_u32 v0, vcc_lo, s16, v1
	v_add_co_ci_u32_e64 v1, null, s17, v2, vcc_lo
	v_mov_b32_e32 v2, 1
	global_store_dword v[0:1], v2, off
.LBB26_54:
	s_endpgm
	.section	.rodata,"a",@progbits
	.p2align	6, 0x0
	.amdhsa_kernel _ZN9rocsparseL17csrilu0_binsearchILj256ELj64ELb1E21rocsparse_complex_numIfEEEviPKiS4_PT2_S4_PiS4_S7_S7_d21rocsparse_index_base_imNS_24const_host_device_scalarIfEENS9_IdEENS9_IS5_EEb
		.amdhsa_group_segment_fixed_size 0
		.amdhsa_private_segment_fixed_size 0
		.amdhsa_kernarg_size 124
		.amdhsa_user_sgpr_count 6
		.amdhsa_user_sgpr_private_segment_buffer 1
		.amdhsa_user_sgpr_dispatch_ptr 0
		.amdhsa_user_sgpr_queue_ptr 0
		.amdhsa_user_sgpr_kernarg_segment_ptr 1
		.amdhsa_user_sgpr_dispatch_id 0
		.amdhsa_user_sgpr_flat_scratch_init 0
		.amdhsa_user_sgpr_private_segment_size 0
		.amdhsa_wavefront_size32 1
		.amdhsa_uses_dynamic_stack 0
		.amdhsa_system_sgpr_private_segment_wavefront_offset 0
		.amdhsa_system_sgpr_workgroup_id_x 1
		.amdhsa_system_sgpr_workgroup_id_y 0
		.amdhsa_system_sgpr_workgroup_id_z 0
		.amdhsa_system_sgpr_workgroup_info 0
		.amdhsa_system_vgpr_workitem_id 0
		.amdhsa_next_free_vgpr 26
		.amdhsa_next_free_sgpr 32
		.amdhsa_reserve_vcc 1
		.amdhsa_reserve_flat_scratch 0
		.amdhsa_float_round_mode_32 0
		.amdhsa_float_round_mode_16_64 0
		.amdhsa_float_denorm_mode_32 3
		.amdhsa_float_denorm_mode_16_64 3
		.amdhsa_dx10_clamp 1
		.amdhsa_ieee_mode 1
		.amdhsa_fp16_overflow 0
		.amdhsa_workgroup_processor_mode 1
		.amdhsa_memory_ordered 1
		.amdhsa_forward_progress 1
		.amdhsa_shared_vgpr_count 0
		.amdhsa_exception_fp_ieee_invalid_op 0
		.amdhsa_exception_fp_denorm_src 0
		.amdhsa_exception_fp_ieee_div_zero 0
		.amdhsa_exception_fp_ieee_overflow 0
		.amdhsa_exception_fp_ieee_underflow 0
		.amdhsa_exception_fp_ieee_inexact 0
		.amdhsa_exception_int_div_zero 0
	.end_amdhsa_kernel
	.section	.text._ZN9rocsparseL17csrilu0_binsearchILj256ELj64ELb1E21rocsparse_complex_numIfEEEviPKiS4_PT2_S4_PiS4_S7_S7_d21rocsparse_index_base_imNS_24const_host_device_scalarIfEENS9_IdEENS9_IS5_EEb,"axG",@progbits,_ZN9rocsparseL17csrilu0_binsearchILj256ELj64ELb1E21rocsparse_complex_numIfEEEviPKiS4_PT2_S4_PiS4_S7_S7_d21rocsparse_index_base_imNS_24const_host_device_scalarIfEENS9_IdEENS9_IS5_EEb,comdat
.Lfunc_end26:
	.size	_ZN9rocsparseL17csrilu0_binsearchILj256ELj64ELb1E21rocsparse_complex_numIfEEEviPKiS4_PT2_S4_PiS4_S7_S7_d21rocsparse_index_base_imNS_24const_host_device_scalarIfEENS9_IdEENS9_IS5_EEb, .Lfunc_end26-_ZN9rocsparseL17csrilu0_binsearchILj256ELj64ELb1E21rocsparse_complex_numIfEEEviPKiS4_PT2_S4_PiS4_S7_S7_d21rocsparse_index_base_imNS_24const_host_device_scalarIfEENS9_IdEENS9_IS5_EEb
                                        ; -- End function
	.set _ZN9rocsparseL17csrilu0_binsearchILj256ELj64ELb1E21rocsparse_complex_numIfEEEviPKiS4_PT2_S4_PiS4_S7_S7_d21rocsparse_index_base_imNS_24const_host_device_scalarIfEENS9_IdEENS9_IS5_EEb.num_vgpr, 26
	.set _ZN9rocsparseL17csrilu0_binsearchILj256ELj64ELb1E21rocsparse_complex_numIfEEEviPKiS4_PT2_S4_PiS4_S7_S7_d21rocsparse_index_base_imNS_24const_host_device_scalarIfEENS9_IdEENS9_IS5_EEb.num_agpr, 0
	.set _ZN9rocsparseL17csrilu0_binsearchILj256ELj64ELb1E21rocsparse_complex_numIfEEEviPKiS4_PT2_S4_PiS4_S7_S7_d21rocsparse_index_base_imNS_24const_host_device_scalarIfEENS9_IdEENS9_IS5_EEb.numbered_sgpr, 32
	.set _ZN9rocsparseL17csrilu0_binsearchILj256ELj64ELb1E21rocsparse_complex_numIfEEEviPKiS4_PT2_S4_PiS4_S7_S7_d21rocsparse_index_base_imNS_24const_host_device_scalarIfEENS9_IdEENS9_IS5_EEb.num_named_barrier, 0
	.set _ZN9rocsparseL17csrilu0_binsearchILj256ELj64ELb1E21rocsparse_complex_numIfEEEviPKiS4_PT2_S4_PiS4_S7_S7_d21rocsparse_index_base_imNS_24const_host_device_scalarIfEENS9_IdEENS9_IS5_EEb.private_seg_size, 0
	.set _ZN9rocsparseL17csrilu0_binsearchILj256ELj64ELb1E21rocsparse_complex_numIfEEEviPKiS4_PT2_S4_PiS4_S7_S7_d21rocsparse_index_base_imNS_24const_host_device_scalarIfEENS9_IdEENS9_IS5_EEb.uses_vcc, 1
	.set _ZN9rocsparseL17csrilu0_binsearchILj256ELj64ELb1E21rocsparse_complex_numIfEEEviPKiS4_PT2_S4_PiS4_S7_S7_d21rocsparse_index_base_imNS_24const_host_device_scalarIfEENS9_IdEENS9_IS5_EEb.uses_flat_scratch, 0
	.set _ZN9rocsparseL17csrilu0_binsearchILj256ELj64ELb1E21rocsparse_complex_numIfEEEviPKiS4_PT2_S4_PiS4_S7_S7_d21rocsparse_index_base_imNS_24const_host_device_scalarIfEENS9_IdEENS9_IS5_EEb.has_dyn_sized_stack, 0
	.set _ZN9rocsparseL17csrilu0_binsearchILj256ELj64ELb1E21rocsparse_complex_numIfEEEviPKiS4_PT2_S4_PiS4_S7_S7_d21rocsparse_index_base_imNS_24const_host_device_scalarIfEENS9_IdEENS9_IS5_EEb.has_recursion, 0
	.set _ZN9rocsparseL17csrilu0_binsearchILj256ELj64ELb1E21rocsparse_complex_numIfEEEviPKiS4_PT2_S4_PiS4_S7_S7_d21rocsparse_index_base_imNS_24const_host_device_scalarIfEENS9_IdEENS9_IS5_EEb.has_indirect_call, 0
	.section	.AMDGPU.csdata,"",@progbits
; Kernel info:
; codeLenInByte = 2344
; TotalNumSgprs: 34
; NumVgprs: 26
; ScratchSize: 0
; MemoryBound: 0
; FloatMode: 240
; IeeeMode: 1
; LDSByteSize: 0 bytes/workgroup (compile time only)
; SGPRBlocks: 0
; VGPRBlocks: 3
; NumSGPRsForWavesPerEU: 34
; NumVGPRsForWavesPerEU: 26
; Occupancy: 16
; WaveLimiterHint : 1
; COMPUTE_PGM_RSRC2:SCRATCH_EN: 0
; COMPUTE_PGM_RSRC2:USER_SGPR: 6
; COMPUTE_PGM_RSRC2:TRAP_HANDLER: 0
; COMPUTE_PGM_RSRC2:TGID_X_EN: 1
; COMPUTE_PGM_RSRC2:TGID_Y_EN: 0
; COMPUTE_PGM_RSRC2:TGID_Z_EN: 0
; COMPUTE_PGM_RSRC2:TIDIG_COMP_CNT: 0
	.section	.text._ZN9rocsparseL12csrilu0_hashILj256ELj32ELj1E21rocsparse_complex_numIfEEEviPKiS4_PT2_S4_PiS4_S7_S7_d21rocsparse_index_base_imNS_24const_host_device_scalarIfEENS9_IdEENS9_IS5_EEb,"axG",@progbits,_ZN9rocsparseL12csrilu0_hashILj256ELj32ELj1E21rocsparse_complex_numIfEEEviPKiS4_PT2_S4_PiS4_S7_S7_d21rocsparse_index_base_imNS_24const_host_device_scalarIfEENS9_IdEENS9_IS5_EEb,comdat
	.globl	_ZN9rocsparseL12csrilu0_hashILj256ELj32ELj1E21rocsparse_complex_numIfEEEviPKiS4_PT2_S4_PiS4_S7_S7_d21rocsparse_index_base_imNS_24const_host_device_scalarIfEENS9_IdEENS9_IS5_EEb ; -- Begin function _ZN9rocsparseL12csrilu0_hashILj256ELj32ELj1E21rocsparse_complex_numIfEEEviPKiS4_PT2_S4_PiS4_S7_S7_d21rocsparse_index_base_imNS_24const_host_device_scalarIfEENS9_IdEENS9_IS5_EEb
	.p2align	8
	.type	_ZN9rocsparseL12csrilu0_hashILj256ELj32ELj1E21rocsparse_complex_numIfEEEviPKiS4_PT2_S4_PiS4_S7_S7_d21rocsparse_index_base_imNS_24const_host_device_scalarIfEENS9_IdEENS9_IS5_EEb,@function
_ZN9rocsparseL12csrilu0_hashILj256ELj32ELj1E21rocsparse_complex_numIfEEEviPKiS4_PT2_S4_PiS4_S7_S7_d21rocsparse_index_base_imNS_24const_host_device_scalarIfEENS9_IdEENS9_IS5_EEb: ; @_ZN9rocsparseL12csrilu0_hashILj256ELj32ELj1E21rocsparse_complex_numIfEEEviPKiS4_PT2_S4_PiS4_S7_S7_d21rocsparse_index_base_imNS_24const_host_device_scalarIfEENS9_IdEENS9_IS5_EEb
; %bb.0:
	s_clause 0x2
	s_load_dword s0, s[4:5], 0x78
	s_load_dwordx2 s[2:3], s[4:5], 0x50
	s_load_dwordx8 s[24:31], s[4:5], 0x58
	s_waitcnt lgkmcnt(0)
	s_bitcmp1_b32 s0, 0
	s_cselect_b32 s7, -1, 0
	s_cmp_eq_u32 s3, 0
	s_cselect_b32 s9, -1, 0
	s_cmp_lg_u32 s3, 0
	s_cselect_b32 s3, -1, 0
	s_or_b32 s10, s9, s7
	s_xor_b32 s8, s10, -1
	s_and_b32 s0, s9, exec_lo
	s_cselect_b32 s1, 0, s29
	s_cselect_b32 s0, 0, s28
	s_and_b32 vcc_lo, exec_lo, s10
	s_cbranch_vccnz .LBB27_2
; %bb.1:
	s_load_dword s0, s[26:27], 0x0
	s_waitcnt lgkmcnt(0)
	v_mov_b32_e32 v16, s0
	s_mov_b64 s[0:1], s[28:29]
	v_mov_b32_e32 v3, s1
	v_mov_b32_e32 v2, s0
	s_andn2_b32 vcc_lo, exec_lo, s8
	s_cbranch_vccz .LBB27_3
	s_branch .LBB27_4
.LBB27_2:
	v_cndmask_b32_e64 v16, s26, 0, s9
	v_mov_b32_e32 v3, s1
	v_mov_b32_e32 v2, s0
	s_andn2_b32 vcc_lo, exec_lo, s8
	s_cbranch_vccnz .LBB27_4
.LBB27_3:
	v_mov_b32_e32 v1, s28
	v_mov_b32_e32 v2, s29
	flat_load_dwordx2 v[2:3], v[1:2]
.LBB27_4:
	v_cndmask_b32_e64 v17, 0, 1, s3
	s_mov_b32 s1, 0
	s_andn2_b32 vcc_lo, exec_lo, s3
	s_mov_b32 s3, 0
	s_cbranch_vccnz .LBB27_10
; %bb.5:
	s_xor_b32 s0, s7, -1
	s_mov_b32 s1, s30
	v_cndmask_b32_e64 v1, 0, 1, s0
	s_andn2_b32 vcc_lo, exec_lo, s0
	s_cbranch_vccnz .LBB27_7
; %bb.6:
	s_load_dword s1, s[30:31], 0x0
.LBB27_7:
	v_cmp_ne_u32_e32 vcc_lo, 1, v1
	s_cbranch_vccnz .LBB27_9
; %bb.8:
	s_load_dword s31, s[30:31], 0x4
.LBB27_9:
	s_waitcnt lgkmcnt(0)
	s_mov_b32 s3, s31
.LBB27_10:
	s_load_dword s0, s[4:5], 0x0
	v_and_b32_e32 v8, 0xe0, v0
	v_lshrrev_b32_e32 v1, 5, v0
	s_lshl_b32 s6, s6, 3
	v_and_b32_e32 v15, 31, v0
	v_mov_b32_e32 v4, -1
	v_lshl_or_b32 v18, v8, 2, 0x400
	v_and_or_b32 v0, 0x7fffff8, s6, v1
	v_lshl_or_b32 v1, v15, 2, v18
	ds_write_b32 v1, v4
	s_waitcnt vmcnt(0) lgkmcnt(0)
	buffer_gl0_inv
	v_cmp_gt_i32_e32 vcc_lo, s0, v0
	s_and_saveexec_b32 s0, vcc_lo
	s_cbranch_execz .LBB27_88
; %bb.11:
	s_load_dwordx16 s[8:23], s[4:5], 0x8
	v_lshlrev_b32_e32 v0, 2, v0
	v_lshlrev_b32_e32 v19, 2, v8
	s_mov_b32 s0, exec_lo
	s_waitcnt lgkmcnt(0)
	global_load_dword v4, v0, s[18:19]
	s_waitcnt vmcnt(0)
	v_ashrrev_i32_e32 v5, 31, v4
	v_lshlrev_b64 v[0:1], 2, v[4:5]
	v_add_co_u32 v5, vcc_lo, s8, v0
	v_add_co_ci_u32_e64 v6, null, s9, v1, vcc_lo
	v_add_co_u32 v9, vcc_lo, s14, v0
	v_add_co_ci_u32_e64 v10, null, s15, v1, vcc_lo
	global_load_dwordx2 v[6:7], v[5:6], off
	global_load_dword v5, v[9:10], off
	s_waitcnt vmcnt(1)
	v_subrev_nc_u32_e32 v6, s2, v6
	v_subrev_nc_u32_e32 v9, s2, v7
	v_add_nc_u32_e32 v7, v6, v15
	v_cmpx_lt_i32_e64 v7, v9
	s_cbranch_execz .LBB27_34
; %bb.12:
	v_mov_b32_e32 v10, -1
	s_mov_b32 s6, 0
	s_branch .LBB27_14
.LBB27_13:                              ;   in Loop: Header=BB27_14 Depth=1
	s_or_b32 exec_lo, exec_lo, s7
	v_add_nc_u32_e32 v7, 32, v7
	v_cmp_ge_i32_e32 vcc_lo, v7, v9
	s_or_b32 s6, vcc_lo, s6
	s_andn2_b32 exec_lo, exec_lo, s6
	s_cbranch_execz .LBB27_34
.LBB27_14:                              ; =>This Loop Header: Depth=1
                                        ;     Child Loop BB27_23 Depth 2
	v_ashrrev_i32_e32 v8, 31, v7
	s_mov_b32 s7, 0
                                        ; implicit-def: $sgpr18
                                        ; implicit-def: $sgpr19
                                        ; implicit-def: $sgpr26
	v_lshlrev_b64 v[11:12], 2, v[7:8]
	v_add_co_u32 v11, vcc_lo, s10, v11
	v_add_co_ci_u32_e64 v12, null, s11, v12, vcc_lo
	global_load_dword v8, v[11:12], off
	v_mov_b32_e32 v11, 32
	s_waitcnt vmcnt(0)
	v_mul_lo_u32 v13, v8, 7
	s_branch .LBB27_23
.LBB27_15:                              ;   in Loop: Header=BB27_23 Depth=2
	s_or_b32 exec_lo, exec_lo, s37
	s_orn2_b32 s35, s35, exec_lo
	s_orn2_b32 s36, s36, exec_lo
.LBB27_16:                              ;   in Loop: Header=BB27_23 Depth=2
	s_or_b32 exec_lo, exec_lo, s34
	s_and_b32 s35, s35, exec_lo
	s_orn2_b32 s34, s36, exec_lo
.LBB27_17:                              ;   in Loop: Header=BB27_23 Depth=2
	s_or_b32 exec_lo, exec_lo, s33
	s_orn2_b32 s33, s35, exec_lo
	s_orn2_b32 s34, s34, exec_lo
.LBB27_18:                              ;   in Loop: Header=BB27_23 Depth=2
	s_or_b32 exec_lo, exec_lo, s31
	s_and_b32 s33, s33, exec_lo
	s_orn2_b32 s31, s34, exec_lo
.LBB27_19:                              ;   in Loop: Header=BB27_23 Depth=2
	s_or_b32 exec_lo, exec_lo, s30
	s_orn2_b32 s30, s33, exec_lo
	s_orn2_b32 s31, s31, exec_lo
.LBB27_20:                              ;   in Loop: Header=BB27_23 Depth=2
	s_or_b32 exec_lo, exec_lo, s29
	s_and_b32 s30, s30, exec_lo
	s_orn2_b32 s29, s31, exec_lo
.LBB27_21:                              ;   in Loop: Header=BB27_23 Depth=2
	s_or_b32 exec_lo, exec_lo, s28
	s_andn2_b32 s26, s26, exec_lo
	s_and_b32 s28, s30, exec_lo
	s_andn2_b32 s19, s19, exec_lo
	s_and_b32 s29, s29, exec_lo
	s_or_b32 s26, s26, s28
	s_or_b32 s19, s19, s29
.LBB27_22:                              ;   in Loop: Header=BB27_23 Depth=2
	s_or_b32 exec_lo, exec_lo, s27
	s_and_b32 s27, exec_lo, s19
	s_or_b32 s7, s27, s7
	s_andn2_b32 s18, s18, exec_lo
	s_and_b32 s27, s26, exec_lo
	s_or_b32 s18, s18, s27
	s_andn2_b32 exec_lo, exec_lo, s7
	s_cbranch_execz .LBB27_32
.LBB27_23:                              ;   Parent Loop BB27_14 Depth=1
                                        ; =>  This Inner Loop Header: Depth=2
	v_and_b32_e32 v12, 31, v13
	s_or_b32 s26, s26, exec_lo
	s_or_b32 s19, s19, exec_lo
	s_mov_b32 s27, exec_lo
	v_lshl_add_u32 v14, v12, 2, v18
	ds_read_b32 v20, v14
	s_waitcnt lgkmcnt(0)
	v_cmpx_ne_u32_e64 v20, v8
	s_cbranch_execz .LBB27_22
; %bb.24:                               ;   in Loop: Header=BB27_23 Depth=2
	ds_cmpst_rtn_b32 v14, v14, v10, v8
	s_mov_b32 s29, -1
	s_mov_b32 s30, 0
	s_mov_b32 s28, exec_lo
	s_waitcnt lgkmcnt(0)
	v_cmpx_ne_u32_e32 -1, v14
	s_cbranch_execz .LBB27_21
; %bb.25:                               ;   in Loop: Header=BB27_23 Depth=2
	v_add_nc_u32_e32 v12, 1, v13
	s_mov_b32 s31, -1
	s_mov_b32 s30, -1
	s_mov_b32 s29, exec_lo
	v_and_b32_e32 v12, 31, v12
	v_lshl_add_u32 v14, v12, 2, v18
	ds_read_b32 v20, v14
	s_waitcnt lgkmcnt(0)
	v_cmpx_ne_u32_e64 v20, v8
	s_cbranch_execz .LBB27_20
; %bb.26:                               ;   in Loop: Header=BB27_23 Depth=2
	ds_cmpst_rtn_b32 v14, v14, v10, v8
	s_mov_b32 s33, 0
	s_mov_b32 s30, exec_lo
	s_waitcnt lgkmcnt(0)
	v_cmpx_ne_u32_e32 -1, v14
	s_cbranch_execz .LBB27_19
; %bb.27:                               ;   in Loop: Header=BB27_23 Depth=2
	v_add_nc_u32_e32 v12, 2, v13
	s_mov_b32 s34, -1
	s_mov_b32 s33, -1
	s_mov_b32 s31, exec_lo
	v_and_b32_e32 v12, 31, v12
	v_lshl_add_u32 v14, v12, 2, v18
	ds_read_b32 v20, v14
	s_waitcnt lgkmcnt(0)
	v_cmpx_ne_u32_e64 v20, v8
	s_cbranch_execz .LBB27_18
; %bb.28:                               ;   in Loop: Header=BB27_23 Depth=2
	ds_cmpst_rtn_b32 v14, v14, v10, v8
	s_mov_b32 s35, 0
	s_mov_b32 s33, exec_lo
	s_waitcnt lgkmcnt(0)
	v_cmpx_ne_u32_e32 -1, v14
	s_cbranch_execz .LBB27_17
; %bb.29:                               ;   in Loop: Header=BB27_23 Depth=2
	v_add_nc_u32_e32 v12, 3, v13
	s_mov_b32 s36, -1
	s_mov_b32 s35, -1
	v_and_b32_e32 v12, 31, v12
	v_lshl_add_u32 v14, v12, 2, v18
	ds_read_b32 v13, v14
	s_waitcnt lgkmcnt(0)
	v_cmp_ne_u32_e32 vcc_lo, v13, v8
                                        ; implicit-def: $vgpr13
	s_and_saveexec_b32 s34, vcc_lo
	s_cbranch_execz .LBB27_16
; %bb.30:                               ;   in Loop: Header=BB27_23 Depth=2
	ds_cmpst_rtn_b32 v13, v14, v10, v8
	s_mov_b32 s35, 0
	s_waitcnt lgkmcnt(0)
	v_cmp_ne_u32_e32 vcc_lo, -1, v13
                                        ; implicit-def: $vgpr13
	s_and_saveexec_b32 s37, vcc_lo
	s_cbranch_execz .LBB27_15
; %bb.31:                               ;   in Loop: Header=BB27_23 Depth=2
	v_add_nc_u32_e32 v11, -4, v11
	v_add_nc_u32_e32 v13, 1, v12
	s_mov_b32 s35, exec_lo
	v_cmp_eq_u32_e32 vcc_lo, 0, v11
	s_orn2_b32 s36, vcc_lo, exec_lo
	s_branch .LBB27_15
.LBB27_32:                              ;   in Loop: Header=BB27_14 Depth=1
	s_or_b32 exec_lo, exec_lo, s7
	s_xor_b32 s7, s18, -1
	s_and_saveexec_b32 s18, s7
	s_xor_b32 s7, exec_lo, s18
	s_cbranch_execz .LBB27_13
; %bb.33:                               ;   in Loop: Header=BB27_14 Depth=1
	v_lshl_add_u32 v8, v12, 2, v19
	ds_write_b32 v8, v7
	s_branch .LBB27_13
.LBB27_34:
	s_or_b32 exec_lo, exec_lo, s0
	s_mov_b32 s6, exec_lo
	s_waitcnt vmcnt(0) lgkmcnt(0)
	buffer_gl0_inv
	v_cmpx_lt_i32_e64 v6, v5
	s_cbranch_execz .LBB27_64
; %bb.35:
	v_add_nc_u32_e32 v20, 1, v15
	s_mov_b32 s7, 0
	s_branch .LBB27_38
.LBB27_36:                              ;   in Loop: Header=BB27_38 Depth=1
	s_or_b32 exec_lo, exec_lo, s18
	v_add_nc_u32_e32 v6, 1, v6
	v_cmp_ge_i32_e32 vcc_lo, v6, v5
	s_orn2_b32 s18, vcc_lo, exec_lo
.LBB27_37:                              ;   in Loop: Header=BB27_38 Depth=1
	s_or_b32 exec_lo, exec_lo, s0
	s_and_b32 s0, exec_lo, s18
	s_or_b32 s7, s0, s7
	s_andn2_b32 exec_lo, exec_lo, s7
	s_cbranch_execz .LBB27_64
.LBB27_38:                              ; =>This Loop Header: Depth=1
                                        ;     Child Loop BB27_39 Depth 2
                                        ;     Child Loop BB27_44 Depth 2
                                        ;       Child Loop BB27_53 Depth 3
	v_ashrrev_i32_e32 v7, 31, v6
	s_mov_b32 s0, 0
	v_lshlrev_b64 v[8:9], 2, v[6:7]
	v_lshlrev_b64 v[11:12], 3, v[6:7]
	v_add_co_u32 v8, vcc_lo, s10, v8
	v_add_co_ci_u32_e64 v9, null, s11, v9, vcc_lo
	v_add_co_u32 v11, vcc_lo, s12, v11
	v_add_co_ci_u32_e64 v12, null, s13, v12, vcc_lo
	global_load_dword v8, v[8:9], off
	s_waitcnt vmcnt(0)
	v_subrev_nc_u32_e32 v8, s2, v8
	v_ashrrev_i32_e32 v9, 31, v8
	v_lshlrev_b64 v[9:10], 2, v[8:9]
	v_add_co_u32 v13, vcc_lo, s8, v9
	v_add_co_ci_u32_e64 v14, null, s9, v10, vcc_lo
	v_add_co_u32 v21, vcc_lo, s14, v9
	v_add_co_ci_u32_e64 v22, null, s15, v10, vcc_lo
	global_load_dwordx2 v[7:8], v[11:12], off
	global_load_dword v13, v[13:14], off offset:4
	global_load_dword v14, v[21:22], off
	v_add_co_u32 v9, vcc_lo, s16, v9
	v_add_co_ci_u32_e64 v10, null, s17, v10, vcc_lo
.LBB27_39:                              ;   Parent Loop BB27_38 Depth=1
                                        ; =>  This Inner Loop Header: Depth=2
	global_load_dword v21, v[9:10], off glc dlc
	s_waitcnt vmcnt(0)
	v_cmp_ne_u32_e32 vcc_lo, 0, v21
	s_or_b32 s0, vcc_lo, s0
	s_andn2_b32 exec_lo, exec_lo, s0
	s_cbranch_execnz .LBB27_39
; %bb.40:                               ;   in Loop: Header=BB27_38 Depth=1
	s_or_b32 exec_lo, exec_lo, s0
	v_subrev_nc_u32_e32 v21, s2, v13
	v_cmp_eq_u32_e32 vcc_lo, -1, v14
	buffer_gl1_inv
	buffer_gl0_inv
	s_mov_b32 s18, -1
	v_add_nc_u32_e32 v9, -1, v21
	v_cndmask_b32_e32 v9, v14, v9, vcc_lo
	v_ashrrev_i32_e32 v10, 31, v9
	v_lshlrev_b64 v[13:14], 3, v[9:10]
	v_add_co_u32 v13, vcc_lo, s12, v13
	v_add_co_ci_u32_e64 v14, null, s13, v14, vcc_lo
	global_load_dwordx2 v[13:14], v[13:14], off
	s_waitcnt vmcnt(0)
	v_cmp_neq_f32_e32 vcc_lo, 0, v13
	v_cmp_neq_f32_e64 s0, 0, v14
	s_or_b32 s19, vcc_lo, s0
	s_and_saveexec_b32 s0, s19
	s_cbranch_execz .LBB27_37
; %bb.41:                               ;   in Loop: Header=BB27_38 Depth=1
	v_mul_f32_e32 v10, v14, v14
	s_mov_b32 s18, exec_lo
	v_fmac_f32_e32 v10, v13, v13
	v_div_scale_f32 v22, null, v10, v10, 1.0
	v_div_scale_f32 v25, vcc_lo, 1.0, v10, 1.0
	v_rcp_f32_e32 v23, v22
	v_fma_f32 v24, -v22, v23, 1.0
	v_fmac_f32_e32 v23, v24, v23
	v_mul_f32_e32 v24, v25, v23
	v_fma_f32 v26, -v22, v24, v25
	v_fmac_f32_e32 v24, v26, v23
	v_fma_f32 v22, -v22, v24, v25
	v_mul_f32_e32 v25, v8, v14
	v_mul_f32_e64 v14, v14, -v7
	v_div_fmas_f32 v22, v22, v23, v24
	v_fmac_f32_e32 v25, v7, v13
	v_fmac_f32_e32 v14, v8, v13
	v_add_nc_u32_e32 v7, v20, v9
	v_div_fixup_f32 v10, v22, v10, 1.0
	v_mul_f32_e32 v9, v25, v10
	v_mul_f32_e32 v10, v14, v10
	global_store_dwordx2 v[11:12], v[9:10], off
	v_cmpx_lt_i32_e64 v7, v21
	s_cbranch_execz .LBB27_36
; %bb.42:                               ;   in Loop: Header=BB27_38 Depth=1
	s_mov_b32 s19, 0
	s_branch .LBB27_44
.LBB27_43:                              ;   in Loop: Header=BB27_44 Depth=2
	s_or_b32 exec_lo, exec_lo, s26
	v_add_nc_u32_e32 v7, 32, v7
	v_cmp_ge_i32_e32 vcc_lo, v7, v21
	s_or_b32 s19, vcc_lo, s19
	s_andn2_b32 exec_lo, exec_lo, s19
	s_cbranch_execz .LBB27_36
.LBB27_44:                              ;   Parent Loop BB27_38 Depth=1
                                        ; =>  This Loop Header: Depth=2
                                        ;       Child Loop BB27_53 Depth 3
	v_ashrrev_i32_e32 v8, 31, v7
	s_mov_b32 s26, 0
                                        ; implicit-def: $sgpr27
                                        ; implicit-def: $sgpr28
                                        ; implicit-def: $sgpr29
	v_lshlrev_b64 v[11:12], 2, v[7:8]
	v_add_co_u32 v11, vcc_lo, s10, v11
	v_add_co_ci_u32_e64 v12, null, s11, v12, vcc_lo
	global_load_dword v11, v[11:12], off
	v_mov_b32_e32 v12, 32
	s_waitcnt vmcnt(0)
	v_mul_lo_u32 v14, v11, 7
	s_branch .LBB27_53
.LBB27_45:                              ;   in Loop: Header=BB27_53 Depth=3
	s_or_b32 exec_lo, exec_lo, s40
	s_orn2_b32 s38, s38, exec_lo
	s_orn2_b32 s39, s39, exec_lo
.LBB27_46:                              ;   in Loop: Header=BB27_53 Depth=3
	s_or_b32 exec_lo, exec_lo, s37
	s_and_b32 s38, s38, exec_lo
	s_orn2_b32 s37, s39, exec_lo
.LBB27_47:                              ;   in Loop: Header=BB27_53 Depth=3
	s_or_b32 exec_lo, exec_lo, s36
	s_orn2_b32 s36, s38, exec_lo
	s_orn2_b32 s37, s37, exec_lo
.LBB27_48:                              ;   in Loop: Header=BB27_53 Depth=3
	s_or_b32 exec_lo, exec_lo, s35
	s_and_b32 s36, s36, exec_lo
	s_orn2_b32 s35, s37, exec_lo
.LBB27_49:                              ;   in Loop: Header=BB27_53 Depth=3
	s_or_b32 exec_lo, exec_lo, s34
	s_orn2_b32 s34, s36, exec_lo
	s_orn2_b32 s35, s35, exec_lo
.LBB27_50:                              ;   in Loop: Header=BB27_53 Depth=3
	s_or_b32 exec_lo, exec_lo, s33
	s_and_b32 s34, s34, exec_lo
	s_orn2_b32 s33, s35, exec_lo
.LBB27_51:                              ;   in Loop: Header=BB27_53 Depth=3
	s_or_b32 exec_lo, exec_lo, s31
	s_andn2_b32 s29, s29, exec_lo
	s_and_b32 s31, s34, exec_lo
	s_andn2_b32 s28, s28, exec_lo
	s_and_b32 s33, s33, exec_lo
	s_or_b32 s29, s29, s31
	s_or_b32 s28, s28, s33
.LBB27_52:                              ;   in Loop: Header=BB27_53 Depth=3
	s_or_b32 exec_lo, exec_lo, s30
	s_and_b32 s30, exec_lo, s28
	s_or_b32 s26, s30, s26
	s_andn2_b32 s27, s27, exec_lo
	s_and_b32 s30, s29, exec_lo
	s_or_b32 s27, s27, s30
	s_andn2_b32 exec_lo, exec_lo, s26
	s_cbranch_execz .LBB27_62
.LBB27_53:                              ;   Parent Loop BB27_38 Depth=1
                                        ;     Parent Loop BB27_44 Depth=2
                                        ; =>    This Inner Loop Header: Depth=3
	v_and_b32_e32 v13, 31, v14
	s_or_b32 s29, s29, exec_lo
	s_or_b32 s28, s28, exec_lo
	s_mov_b32 s30, exec_lo
	v_lshl_add_u32 v22, v13, 2, v18
	ds_read_b32 v22, v22
	s_waitcnt lgkmcnt(0)
	v_cmpx_ne_u32_e32 -1, v22
	s_cbranch_execz .LBB27_52
; %bb.54:                               ;   in Loop: Header=BB27_53 Depth=3
	s_mov_b32 s33, -1
	s_mov_b32 s34, 0
	s_mov_b32 s31, exec_lo
	v_cmpx_ne_u32_e64 v22, v11
	s_cbranch_execz .LBB27_51
; %bb.55:                               ;   in Loop: Header=BB27_53 Depth=3
	v_add_nc_u32_e32 v13, 1, v14
	s_mov_b32 s35, -1
	s_mov_b32 s34, -1
	s_mov_b32 s33, exec_lo
	v_and_b32_e32 v13, 31, v13
	v_lshl_add_u32 v22, v13, 2, v18
	ds_read_b32 v22, v22
	s_waitcnt lgkmcnt(0)
	v_cmpx_ne_u32_e32 -1, v22
	s_cbranch_execz .LBB27_50
; %bb.56:                               ;   in Loop: Header=BB27_53 Depth=3
	s_mov_b32 s36, 0
	s_mov_b32 s34, exec_lo
	v_cmpx_ne_u32_e64 v22, v11
	s_cbranch_execz .LBB27_49
; %bb.57:                               ;   in Loop: Header=BB27_53 Depth=3
	v_add_nc_u32_e32 v13, 2, v14
	s_mov_b32 s37, -1
	s_mov_b32 s36, -1
	s_mov_b32 s35, exec_lo
	v_and_b32_e32 v13, 31, v13
	v_lshl_add_u32 v22, v13, 2, v18
	ds_read_b32 v22, v22
	s_waitcnt lgkmcnt(0)
	v_cmpx_ne_u32_e32 -1, v22
	s_cbranch_execz .LBB27_48
; %bb.58:                               ;   in Loop: Header=BB27_53 Depth=3
	s_mov_b32 s38, 0
	s_mov_b32 s36, exec_lo
	v_cmpx_ne_u32_e64 v22, v11
	s_cbranch_execz .LBB27_47
; %bb.59:                               ;   in Loop: Header=BB27_53 Depth=3
	v_add_nc_u32_e32 v13, 3, v14
	s_mov_b32 s39, -1
	s_mov_b32 s38, -1
	s_mov_b32 s37, exec_lo
	v_and_b32_e32 v13, 31, v13
	v_lshl_add_u32 v14, v13, 2, v18
	ds_read_b32 v22, v14
                                        ; implicit-def: $vgpr14
	s_waitcnt lgkmcnt(0)
	v_cmpx_ne_u32_e32 -1, v22
	s_cbranch_execz .LBB27_46
; %bb.60:                               ;   in Loop: Header=BB27_53 Depth=3
	s_mov_b32 s38, 0
	s_mov_b32 s40, exec_lo
                                        ; implicit-def: $vgpr14
	v_cmpx_ne_u32_e64 v22, v11
	s_cbranch_execz .LBB27_45
; %bb.61:                               ;   in Loop: Header=BB27_53 Depth=3
	v_add_nc_u32_e32 v12, -4, v12
	v_add_nc_u32_e32 v14, 1, v13
	s_mov_b32 s38, exec_lo
	v_cmp_eq_u32_e32 vcc_lo, 0, v12
	s_orn2_b32 s39, vcc_lo, exec_lo
	s_branch .LBB27_45
.LBB27_62:                              ;   in Loop: Header=BB27_44 Depth=2
	s_or_b32 exec_lo, exec_lo, s26
	s_xor_b32 s26, s27, -1
	s_and_saveexec_b32 s27, s26
	s_xor_b32 s26, exec_lo, s27
	s_cbranch_execz .LBB27_43
; %bb.63:                               ;   in Loop: Header=BB27_44 Depth=2
	v_lshl_add_u32 v11, v13, 2, v19
	v_lshlrev_b64 v[13:14], 3, v[7:8]
	ds_read_b32 v11, v11
	v_add_co_u32 v13, vcc_lo, s12, v13
	v_add_co_ci_u32_e64 v14, null, s13, v14, vcc_lo
	s_waitcnt lgkmcnt(0)
	v_ashrrev_i32_e32 v12, 31, v11
	v_lshlrev_b64 v[11:12], 3, v[11:12]
	v_add_co_u32 v11, vcc_lo, s12, v11
	v_add_co_ci_u32_e64 v12, null, s13, v12, vcc_lo
	s_clause 0x1
	global_load_dwordx2 v[13:14], v[13:14], off
	global_load_dwordx2 v[22:23], v[11:12], off
	s_waitcnt vmcnt(0)
	v_fma_f32 v22, -v9, v13, v22
	v_fma_f32 v8, -v10, v13, v23
	v_fmac_f32_e32 v22, v10, v14
	v_fma_f32 v23, -v9, v14, v8
	global_store_dwordx2 v[11:12], v[22:23], off
	s_branch .LBB27_43
.LBB27_64:
	s_or_b32 exec_lo, exec_lo, s6
	s_mov_b32 s6, exec_lo
	s_waitcnt_vscnt null, 0x0
	buffer_gl0_inv
	v_cmpx_lt_i32_e32 -1, v5
	s_cbranch_execz .LBB27_86
; %bb.65:
	v_mov_b32_e32 v6, 0
	s_mov_b32 s0, exec_lo
	v_lshlrev_b64 v[7:8], 3, v[5:6]
	v_add_co_u32 v9, vcc_lo, s12, v7
	v_add_co_ci_u32_e64 v10, null, s13, v8, vcc_lo
	global_load_dwordx2 v[7:8], v[9:10], off
	s_waitcnt vmcnt(0)
	v_cmp_gt_f32_e32 vcc_lo, 0, v7
	v_cndmask_b32_e64 v5, v7, -v7, vcc_lo
	v_cmp_gt_f32_e32 vcc_lo, 0, v8
	v_cndmask_b32_e64 v11, v8, -v8, vcc_lo
	v_cmpx_ngt_f32_e32 v5, v11
	s_xor_b32 s7, exec_lo, s0
	s_cbranch_execz .LBB27_69
; %bb.66:
	s_mov_b32 s8, exec_lo
	v_cmpx_neq_f32_e32 0, v8
	s_cbranch_execz .LBB27_68
; %bb.67:
	v_div_scale_f32 v6, null, v11, v11, v5
	v_div_scale_f32 v14, vcc_lo, v5, v11, v5
	v_rcp_f32_e32 v12, v6
	v_fma_f32 v13, -v6, v12, 1.0
	v_fmac_f32_e32 v12, v13, v12
	v_mul_f32_e32 v13, v14, v12
	v_fma_f32 v18, -v6, v13, v14
	v_fmac_f32_e32 v13, v18, v12
	v_fma_f32 v6, -v6, v13, v14
	v_div_fmas_f32 v6, v6, v12, v13
	v_div_fixup_f32 v5, v6, v11, v5
	v_fma_f32 v5, v5, v5, 1.0
	v_mul_f32_e32 v6, 0x4f800000, v5
	v_cmp_gt_f32_e32 vcc_lo, 0xf800000, v5
	v_cndmask_b32_e32 v5, v5, v6, vcc_lo
	v_sqrt_f32_e32 v6, v5
	v_add_nc_u32_e32 v12, -1, v6
	v_add_nc_u32_e32 v13, 1, v6
	v_fma_f32 v14, -v12, v6, v5
	v_fma_f32 v18, -v13, v6, v5
	v_cmp_ge_f32_e64 s0, 0, v14
	v_cndmask_b32_e64 v6, v6, v12, s0
	v_cmp_lt_f32_e64 s0, 0, v18
	v_cndmask_b32_e64 v6, v6, v13, s0
	v_mul_f32_e32 v12, 0x37800000, v6
	v_cndmask_b32_e32 v6, v6, v12, vcc_lo
	v_cmp_class_f32_e64 vcc_lo, v5, 0x260
	v_cndmask_b32_e32 v5, v6, v5, vcc_lo
	v_mul_f32_e32 v6, v11, v5
.LBB27_68:
	s_or_b32 exec_lo, exec_lo, s8
                                        ; implicit-def: $vgpr5
                                        ; implicit-def: $vgpr11
.LBB27_69:
	s_andn2_saveexec_b32 s7, s7
	s_cbranch_execz .LBB27_71
; %bb.70:
	v_div_scale_f32 v6, null, v5, v5, v11
	v_div_scale_f32 v14, vcc_lo, v11, v5, v11
	v_rcp_f32_e32 v12, v6
	v_fma_f32 v13, -v6, v12, 1.0
	v_fmac_f32_e32 v12, v13, v12
	v_mul_f32_e32 v13, v14, v12
	v_fma_f32 v18, -v6, v13, v14
	v_fmac_f32_e32 v13, v18, v12
	v_fma_f32 v6, -v6, v13, v14
	v_div_fmas_f32 v6, v6, v12, v13
	v_div_fixup_f32 v6, v6, v5, v11
	v_fma_f32 v6, v6, v6, 1.0
	v_mul_f32_e32 v11, 0x4f800000, v6
	v_cmp_gt_f32_e32 vcc_lo, 0xf800000, v6
	v_cndmask_b32_e32 v6, v6, v11, vcc_lo
	v_sqrt_f32_e32 v11, v6
	v_add_nc_u32_e32 v12, -1, v11
	v_add_nc_u32_e32 v13, 1, v11
	v_fma_f32 v14, -v12, v11, v6
	v_fma_f32 v18, -v13, v11, v6
	v_cmp_ge_f32_e64 s0, 0, v14
	v_cndmask_b32_e64 v11, v11, v12, s0
	v_cmp_lt_f32_e64 s0, 0, v18
	v_cndmask_b32_e64 v11, v11, v13, s0
	v_mul_f32_e32 v12, 0x37800000, v11
	v_cndmask_b32_e32 v11, v11, v12, vcc_lo
	v_cmp_class_f32_e64 vcc_lo, v6, 0x260
	v_cndmask_b32_e32 v6, v11, v6, vcc_lo
	v_mul_f32_e32 v6, v5, v6
.LBB27_71:
	s_or_b32 exec_lo, exec_lo, s7
	v_cvt_f64_f32_e32 v[5:6], v6
	v_cmp_ne_u32_e32 vcc_lo, 1, v17
	v_cmp_eq_u32_e64 s0, 0, v15
	s_mov_b32 s7, -1
	s_cbranch_vccnz .LBB27_75
; %bb.72:
	v_cvt_f64_f32_e32 v[11:12], v16
	s_cmp_eq_u64 s[24:25], 8
	s_cselect_b32 vcc_lo, -1, 0
	v_cndmask_b32_e32 v3, v12, v3, vcc_lo
	v_cndmask_b32_e32 v2, v11, v2, vcc_lo
	v_cmp_ge_f64_e32 vcc_lo, v[2:3], v[5:6]
	s_and_b32 s8, s0, vcc_lo
	s_and_saveexec_b32 s7, s8
	s_cbranch_execz .LBB27_74
; %bb.73:
	v_mov_b32_e32 v2, s1
	v_mov_b32_e32 v3, s3
	global_store_dwordx2 v[9:10], v[2:3], off
	s_waitcnt_vscnt null, 0x0
	buffer_gl1_inv
	buffer_gl0_inv
.LBB27_74:
	s_or_b32 exec_lo, exec_lo, s7
	s_mov_b32 s7, 0
.LBB27_75:
	s_andn2_b32 vcc_lo, exec_lo, s7
	s_cbranch_vccnz .LBB27_86
; %bb.76:
	s_load_dwordx2 s[4:5], s[4:5], 0x48
	v_add_nc_u32_e32 v2, s2, v4
	s_waitcnt lgkmcnt(0)
	v_cmp_ge_f64_e32 vcc_lo, s[4:5], v[5:6]
	s_and_b32 s2, s0, vcc_lo
	s_and_saveexec_b32 s1, s2
	s_cbranch_execz .LBB27_81
; %bb.77:
	s_mov_b32 s3, exec_lo
	s_brev_b32 s2, -2
.LBB27_78:                              ; =>This Inner Loop Header: Depth=1
	s_ff1_i32_b32 s4, s3
	v_readlane_b32 s5, v2, s4
	s_lshl_b32 s4, 1, s4
	s_andn2_b32 s3, s3, s4
	s_min_i32 s2, s2, s5
	s_cmp_lg_u32 s3, 0
	s_cbranch_scc1 .LBB27_78
; %bb.79:
	v_mbcnt_lo_u32_b32 v3, exec_lo, 0
	s_mov_b32 s3, exec_lo
	v_cmpx_eq_u32_e32 0, v3
	s_xor_b32 s3, exec_lo, s3
	s_cbranch_execz .LBB27_81
; %bb.80:
	v_mov_b32_e32 v3, 0
	v_mov_b32_e32 v4, s2
	global_atomic_smin v3, v4, s[22:23]
.LBB27_81:
	s_or_b32 exec_lo, exec_lo, s1
	v_cmp_eq_f32_e32 vcc_lo, 0, v7
	v_cmp_eq_f32_e64 s1, 0, v8
	s_and_b32 s1, vcc_lo, s1
	s_and_b32 s0, s0, s1
	s_and_b32 exec_lo, exec_lo, s0
	s_cbranch_execz .LBB27_86
; %bb.82:
	s_mov_b32 s1, exec_lo
	s_brev_b32 s0, -2
.LBB27_83:                              ; =>This Inner Loop Header: Depth=1
	s_ff1_i32_b32 s2, s1
	v_readlane_b32 s3, v2, s2
	s_lshl_b32 s2, 1, s2
	s_andn2_b32 s1, s1, s2
	s_min_i32 s0, s0, s3
	s_cmp_lg_u32 s1, 0
	s_cbranch_scc1 .LBB27_83
; %bb.84:
	v_mbcnt_lo_u32_b32 v2, exec_lo, 0
	s_mov_b32 s1, exec_lo
	v_cmpx_eq_u32_e32 0, v2
	s_xor_b32 s1, exec_lo, s1
	s_cbranch_execz .LBB27_86
; %bb.85:
	v_mov_b32_e32 v2, 0
	v_mov_b32_e32 v3, s0
	global_atomic_smin v2, v3, s[20:21]
.LBB27_86:
	s_or_b32 exec_lo, exec_lo, s6
	v_cmp_eq_u32_e32 vcc_lo, 0, v15
	s_waitcnt_vscnt null, 0x0
	buffer_gl1_inv
	buffer_gl0_inv
	s_and_b32 exec_lo, exec_lo, vcc_lo
	s_cbranch_execz .LBB27_88
; %bb.87:
	v_add_co_u32 v0, vcc_lo, s16, v0
	v_add_co_ci_u32_e64 v1, null, s17, v1, vcc_lo
	v_mov_b32_e32 v2, 1
	global_store_dword v[0:1], v2, off
.LBB27_88:
	s_endpgm
	.section	.rodata,"a",@progbits
	.p2align	6, 0x0
	.amdhsa_kernel _ZN9rocsparseL12csrilu0_hashILj256ELj32ELj1E21rocsparse_complex_numIfEEEviPKiS4_PT2_S4_PiS4_S7_S7_d21rocsparse_index_base_imNS_24const_host_device_scalarIfEENS9_IdEENS9_IS5_EEb
		.amdhsa_group_segment_fixed_size 2048
		.amdhsa_private_segment_fixed_size 0
		.amdhsa_kernarg_size 124
		.amdhsa_user_sgpr_count 6
		.amdhsa_user_sgpr_private_segment_buffer 1
		.amdhsa_user_sgpr_dispatch_ptr 0
		.amdhsa_user_sgpr_queue_ptr 0
		.amdhsa_user_sgpr_kernarg_segment_ptr 1
		.amdhsa_user_sgpr_dispatch_id 0
		.amdhsa_user_sgpr_flat_scratch_init 0
		.amdhsa_user_sgpr_private_segment_size 0
		.amdhsa_wavefront_size32 1
		.amdhsa_uses_dynamic_stack 0
		.amdhsa_system_sgpr_private_segment_wavefront_offset 0
		.amdhsa_system_sgpr_workgroup_id_x 1
		.amdhsa_system_sgpr_workgroup_id_y 0
		.amdhsa_system_sgpr_workgroup_id_z 0
		.amdhsa_system_sgpr_workgroup_info 0
		.amdhsa_system_vgpr_workitem_id 0
		.amdhsa_next_free_vgpr 27
		.amdhsa_next_free_sgpr 41
		.amdhsa_reserve_vcc 1
		.amdhsa_reserve_flat_scratch 0
		.amdhsa_float_round_mode_32 0
		.amdhsa_float_round_mode_16_64 0
		.amdhsa_float_denorm_mode_32 3
		.amdhsa_float_denorm_mode_16_64 3
		.amdhsa_dx10_clamp 1
		.amdhsa_ieee_mode 1
		.amdhsa_fp16_overflow 0
		.amdhsa_workgroup_processor_mode 1
		.amdhsa_memory_ordered 1
		.amdhsa_forward_progress 1
		.amdhsa_shared_vgpr_count 0
		.amdhsa_exception_fp_ieee_invalid_op 0
		.amdhsa_exception_fp_denorm_src 0
		.amdhsa_exception_fp_ieee_div_zero 0
		.amdhsa_exception_fp_ieee_overflow 0
		.amdhsa_exception_fp_ieee_underflow 0
		.amdhsa_exception_fp_ieee_inexact 0
		.amdhsa_exception_int_div_zero 0
	.end_amdhsa_kernel
	.section	.text._ZN9rocsparseL12csrilu0_hashILj256ELj32ELj1E21rocsparse_complex_numIfEEEviPKiS4_PT2_S4_PiS4_S7_S7_d21rocsparse_index_base_imNS_24const_host_device_scalarIfEENS9_IdEENS9_IS5_EEb,"axG",@progbits,_ZN9rocsparseL12csrilu0_hashILj256ELj32ELj1E21rocsparse_complex_numIfEEEviPKiS4_PT2_S4_PiS4_S7_S7_d21rocsparse_index_base_imNS_24const_host_device_scalarIfEENS9_IdEENS9_IS5_EEb,comdat
.Lfunc_end27:
	.size	_ZN9rocsparseL12csrilu0_hashILj256ELj32ELj1E21rocsparse_complex_numIfEEEviPKiS4_PT2_S4_PiS4_S7_S7_d21rocsparse_index_base_imNS_24const_host_device_scalarIfEENS9_IdEENS9_IS5_EEb, .Lfunc_end27-_ZN9rocsparseL12csrilu0_hashILj256ELj32ELj1E21rocsparse_complex_numIfEEEviPKiS4_PT2_S4_PiS4_S7_S7_d21rocsparse_index_base_imNS_24const_host_device_scalarIfEENS9_IdEENS9_IS5_EEb
                                        ; -- End function
	.set _ZN9rocsparseL12csrilu0_hashILj256ELj32ELj1E21rocsparse_complex_numIfEEEviPKiS4_PT2_S4_PiS4_S7_S7_d21rocsparse_index_base_imNS_24const_host_device_scalarIfEENS9_IdEENS9_IS5_EEb.num_vgpr, 27
	.set _ZN9rocsparseL12csrilu0_hashILj256ELj32ELj1E21rocsparse_complex_numIfEEEviPKiS4_PT2_S4_PiS4_S7_S7_d21rocsparse_index_base_imNS_24const_host_device_scalarIfEENS9_IdEENS9_IS5_EEb.num_agpr, 0
	.set _ZN9rocsparseL12csrilu0_hashILj256ELj32ELj1E21rocsparse_complex_numIfEEEviPKiS4_PT2_S4_PiS4_S7_S7_d21rocsparse_index_base_imNS_24const_host_device_scalarIfEENS9_IdEENS9_IS5_EEb.numbered_sgpr, 41
	.set _ZN9rocsparseL12csrilu0_hashILj256ELj32ELj1E21rocsparse_complex_numIfEEEviPKiS4_PT2_S4_PiS4_S7_S7_d21rocsparse_index_base_imNS_24const_host_device_scalarIfEENS9_IdEENS9_IS5_EEb.num_named_barrier, 0
	.set _ZN9rocsparseL12csrilu0_hashILj256ELj32ELj1E21rocsparse_complex_numIfEEEviPKiS4_PT2_S4_PiS4_S7_S7_d21rocsparse_index_base_imNS_24const_host_device_scalarIfEENS9_IdEENS9_IS5_EEb.private_seg_size, 0
	.set _ZN9rocsparseL12csrilu0_hashILj256ELj32ELj1E21rocsparse_complex_numIfEEEviPKiS4_PT2_S4_PiS4_S7_S7_d21rocsparse_index_base_imNS_24const_host_device_scalarIfEENS9_IdEENS9_IS5_EEb.uses_vcc, 1
	.set _ZN9rocsparseL12csrilu0_hashILj256ELj32ELj1E21rocsparse_complex_numIfEEEviPKiS4_PT2_S4_PiS4_S7_S7_d21rocsparse_index_base_imNS_24const_host_device_scalarIfEENS9_IdEENS9_IS5_EEb.uses_flat_scratch, 0
	.set _ZN9rocsparseL12csrilu0_hashILj256ELj32ELj1E21rocsparse_complex_numIfEEEviPKiS4_PT2_S4_PiS4_S7_S7_d21rocsparse_index_base_imNS_24const_host_device_scalarIfEENS9_IdEENS9_IS5_EEb.has_dyn_sized_stack, 0
	.set _ZN9rocsparseL12csrilu0_hashILj256ELj32ELj1E21rocsparse_complex_numIfEEEviPKiS4_PT2_S4_PiS4_S7_S7_d21rocsparse_index_base_imNS_24const_host_device_scalarIfEENS9_IdEENS9_IS5_EEb.has_recursion, 0
	.set _ZN9rocsparseL12csrilu0_hashILj256ELj32ELj1E21rocsparse_complex_numIfEEEviPKiS4_PT2_S4_PiS4_S7_S7_d21rocsparse_index_base_imNS_24const_host_device_scalarIfEENS9_IdEENS9_IS5_EEb.has_indirect_call, 0
	.section	.AMDGPU.csdata,"",@progbits
; Kernel info:
; codeLenInByte = 3176
; TotalNumSgprs: 43
; NumVgprs: 27
; ScratchSize: 0
; MemoryBound: 0
; FloatMode: 240
; IeeeMode: 1
; LDSByteSize: 2048 bytes/workgroup (compile time only)
; SGPRBlocks: 0
; VGPRBlocks: 3
; NumSGPRsForWavesPerEU: 43
; NumVGPRsForWavesPerEU: 27
; Occupancy: 16
; WaveLimiterHint : 1
; COMPUTE_PGM_RSRC2:SCRATCH_EN: 0
; COMPUTE_PGM_RSRC2:USER_SGPR: 6
; COMPUTE_PGM_RSRC2:TRAP_HANDLER: 0
; COMPUTE_PGM_RSRC2:TGID_X_EN: 1
; COMPUTE_PGM_RSRC2:TGID_Y_EN: 0
; COMPUTE_PGM_RSRC2:TGID_Z_EN: 0
; COMPUTE_PGM_RSRC2:TIDIG_COMP_CNT: 0
	.section	.text._ZN9rocsparseL12csrilu0_hashILj256ELj32ELj2E21rocsparse_complex_numIfEEEviPKiS4_PT2_S4_PiS4_S7_S7_d21rocsparse_index_base_imNS_24const_host_device_scalarIfEENS9_IdEENS9_IS5_EEb,"axG",@progbits,_ZN9rocsparseL12csrilu0_hashILj256ELj32ELj2E21rocsparse_complex_numIfEEEviPKiS4_PT2_S4_PiS4_S7_S7_d21rocsparse_index_base_imNS_24const_host_device_scalarIfEENS9_IdEENS9_IS5_EEb,comdat
	.globl	_ZN9rocsparseL12csrilu0_hashILj256ELj32ELj2E21rocsparse_complex_numIfEEEviPKiS4_PT2_S4_PiS4_S7_S7_d21rocsparse_index_base_imNS_24const_host_device_scalarIfEENS9_IdEENS9_IS5_EEb ; -- Begin function _ZN9rocsparseL12csrilu0_hashILj256ELj32ELj2E21rocsparse_complex_numIfEEEviPKiS4_PT2_S4_PiS4_S7_S7_d21rocsparse_index_base_imNS_24const_host_device_scalarIfEENS9_IdEENS9_IS5_EEb
	.p2align	8
	.type	_ZN9rocsparseL12csrilu0_hashILj256ELj32ELj2E21rocsparse_complex_numIfEEEviPKiS4_PT2_S4_PiS4_S7_S7_d21rocsparse_index_base_imNS_24const_host_device_scalarIfEENS9_IdEENS9_IS5_EEb,@function
_ZN9rocsparseL12csrilu0_hashILj256ELj32ELj2E21rocsparse_complex_numIfEEEviPKiS4_PT2_S4_PiS4_S7_S7_d21rocsparse_index_base_imNS_24const_host_device_scalarIfEENS9_IdEENS9_IS5_EEb: ; @_ZN9rocsparseL12csrilu0_hashILj256ELj32ELj2E21rocsparse_complex_numIfEEEviPKiS4_PT2_S4_PiS4_S7_S7_d21rocsparse_index_base_imNS_24const_host_device_scalarIfEENS9_IdEENS9_IS5_EEb
; %bb.0:
	s_clause 0x2
	s_load_dword s0, s[4:5], 0x78
	s_load_dwordx2 s[2:3], s[4:5], 0x50
	s_load_dwordx8 s[24:31], s[4:5], 0x58
	s_waitcnt lgkmcnt(0)
	s_bitcmp1_b32 s0, 0
	s_cselect_b32 s7, -1, 0
	s_cmp_eq_u32 s3, 0
	s_cselect_b32 s9, -1, 0
	s_cmp_lg_u32 s3, 0
	s_cselect_b32 s3, -1, 0
	s_or_b32 s10, s9, s7
	s_xor_b32 s8, s10, -1
	s_and_b32 s0, s9, exec_lo
	s_cselect_b32 s1, 0, s29
	s_cselect_b32 s0, 0, s28
	s_and_b32 vcc_lo, exec_lo, s10
	s_cbranch_vccnz .LBB28_2
; %bb.1:
	s_load_dword s0, s[26:27], 0x0
	s_waitcnt lgkmcnt(0)
	v_mov_b32_e32 v17, s0
	s_mov_b64 s[0:1], s[28:29]
	v_mov_b32_e32 v4, s1
	v_mov_b32_e32 v3, s0
	s_andn2_b32 vcc_lo, exec_lo, s8
	s_cbranch_vccz .LBB28_3
	s_branch .LBB28_4
.LBB28_2:
	v_cndmask_b32_e64 v17, s26, 0, s9
	v_mov_b32_e32 v4, s1
	v_mov_b32_e32 v3, s0
	s_andn2_b32 vcc_lo, exec_lo, s8
	s_cbranch_vccnz .LBB28_4
.LBB28_3:
	v_mov_b32_e32 v1, s28
	v_mov_b32_e32 v2, s29
	flat_load_dwordx2 v[3:4], v[1:2]
.LBB28_4:
	v_cndmask_b32_e64 v18, 0, 1, s3
	s_mov_b32 s1, 0
	s_andn2_b32 vcc_lo, exec_lo, s3
	s_mov_b32 s3, 0
	s_cbranch_vccnz .LBB28_10
; %bb.5:
	s_xor_b32 s0, s7, -1
	s_mov_b32 s1, s30
	v_cndmask_b32_e64 v1, 0, 1, s0
	s_andn2_b32 vcc_lo, exec_lo, s0
	s_cbranch_vccnz .LBB28_7
; %bb.6:
	s_load_dword s1, s[30:31], 0x0
.LBB28_7:
	v_cmp_ne_u32_e32 vcc_lo, 1, v1
	s_cbranch_vccnz .LBB28_9
; %bb.8:
	s_load_dword s31, s[30:31], 0x4
.LBB28_9:
	s_waitcnt lgkmcnt(0)
	s_mov_b32 s3, s31
.LBB28_10:
	v_lshrrev_b32_e32 v1, 5, v0
	v_and_b32_e32 v16, 31, v0
	s_mov_b32 s0, 0
	v_lshlrev_b32_e32 v5, 8, v1
	v_lshlrev_b32_e32 v6, 2, v16
	v_or_b32_e32 v2, 0xffffffe0, v16
	v_or3_b32 v5, v5, v6, 0x800
	v_mov_b32_e32 v6, -1
.LBB28_11:                              ; =>This Inner Loop Header: Depth=1
	v_add_co_u32 v2, s7, v2, 32
	s_xor_b32 s7, s7, -1
	ds_write_b32 v5, v6
	v_add_nc_u32_e32 v5, 0x80, v5
	s_and_b32 s7, exec_lo, s7
	s_or_b32 s0, s7, s0
	s_andn2_b32 exec_lo, exec_lo, s0
	s_cbranch_execnz .LBB28_11
; %bb.12:
	s_or_b32 exec_lo, exec_lo, s0
	s_load_dword s0, s[4:5], 0x0
	s_lshl_b32 s6, s6, 3
	s_waitcnt vmcnt(0) lgkmcnt(0)
	buffer_gl0_inv
	v_and_or_b32 v1, 0x7fffff8, s6, v1
	v_cmp_gt_i32_e32 vcc_lo, s0, v1
	s_and_saveexec_b32 s0, vcc_lo
	s_cbranch_execz .LBB28_90
; %bb.13:
	s_load_dwordx16 s[8:23], s[4:5], 0x8
	v_lshlrev_b32_e32 v1, 2, v1
	v_lshlrev_b32_e32 v0, 3, v0
	s_mov_b32 s0, exec_lo
	v_and_b32_e32 v0, 0x700, v0
	v_or_b32_e32 v19, 0x800, v0
	s_waitcnt lgkmcnt(0)
	global_load_dword v5, v1, s[18:19]
	s_waitcnt vmcnt(0)
	v_ashrrev_i32_e32 v6, 31, v5
	v_lshlrev_b64 v[1:2], 2, v[5:6]
	v_add_co_u32 v6, vcc_lo, s8, v1
	v_add_co_ci_u32_e64 v7, null, s9, v2, vcc_lo
	v_add_co_u32 v9, vcc_lo, s14, v1
	v_add_co_ci_u32_e64 v10, null, s15, v2, vcc_lo
	global_load_dwordx2 v[7:8], v[6:7], off
	global_load_dword v6, v[9:10], off
	s_waitcnt vmcnt(1)
	v_subrev_nc_u32_e32 v7, s2, v7
	v_subrev_nc_u32_e32 v10, s2, v8
	v_add_nc_u32_e32 v8, v7, v16
	v_cmpx_lt_i32_e64 v8, v10
	s_cbranch_execz .LBB28_36
; %bb.14:
	v_mov_b32_e32 v11, -1
	s_mov_b32 s6, 0
	s_branch .LBB28_16
.LBB28_15:                              ;   in Loop: Header=BB28_16 Depth=1
	s_or_b32 exec_lo, exec_lo, s7
	v_add_nc_u32_e32 v8, 32, v8
	v_cmp_ge_i32_e32 vcc_lo, v8, v10
	s_or_b32 s6, vcc_lo, s6
	s_andn2_b32 exec_lo, exec_lo, s6
	s_cbranch_execz .LBB28_36
.LBB28_16:                              ; =>This Loop Header: Depth=1
                                        ;     Child Loop BB28_25 Depth 2
	v_ashrrev_i32_e32 v9, 31, v8
	s_mov_b32 s7, 0
                                        ; implicit-def: $sgpr18
                                        ; implicit-def: $sgpr19
                                        ; implicit-def: $sgpr26
	v_lshlrev_b64 v[12:13], 2, v[8:9]
	v_add_co_u32 v12, vcc_lo, s10, v12
	v_add_co_ci_u32_e64 v13, null, s11, v13, vcc_lo
	global_load_dword v9, v[12:13], off
	v_mov_b32_e32 v12, 64
	s_waitcnt vmcnt(0)
	v_mul_lo_u32 v14, v9, 39
	s_branch .LBB28_25
.LBB28_17:                              ;   in Loop: Header=BB28_25 Depth=2
	s_or_b32 exec_lo, exec_lo, s37
	s_orn2_b32 s35, s35, exec_lo
	s_orn2_b32 s36, s36, exec_lo
.LBB28_18:                              ;   in Loop: Header=BB28_25 Depth=2
	s_or_b32 exec_lo, exec_lo, s34
	s_and_b32 s35, s35, exec_lo
	s_orn2_b32 s34, s36, exec_lo
.LBB28_19:                              ;   in Loop: Header=BB28_25 Depth=2
	s_or_b32 exec_lo, exec_lo, s33
	s_orn2_b32 s33, s35, exec_lo
	s_orn2_b32 s34, s34, exec_lo
.LBB28_20:                              ;   in Loop: Header=BB28_25 Depth=2
	s_or_b32 exec_lo, exec_lo, s31
	s_and_b32 s33, s33, exec_lo
	s_orn2_b32 s31, s34, exec_lo
.LBB28_21:                              ;   in Loop: Header=BB28_25 Depth=2
	s_or_b32 exec_lo, exec_lo, s30
	s_orn2_b32 s30, s33, exec_lo
	s_orn2_b32 s31, s31, exec_lo
.LBB28_22:                              ;   in Loop: Header=BB28_25 Depth=2
	s_or_b32 exec_lo, exec_lo, s29
	s_and_b32 s30, s30, exec_lo
	s_orn2_b32 s29, s31, exec_lo
.LBB28_23:                              ;   in Loop: Header=BB28_25 Depth=2
	s_or_b32 exec_lo, exec_lo, s28
	s_andn2_b32 s26, s26, exec_lo
	s_and_b32 s28, s30, exec_lo
	s_andn2_b32 s19, s19, exec_lo
	s_and_b32 s29, s29, exec_lo
	s_or_b32 s26, s26, s28
	s_or_b32 s19, s19, s29
.LBB28_24:                              ;   in Loop: Header=BB28_25 Depth=2
	s_or_b32 exec_lo, exec_lo, s27
	s_and_b32 s27, exec_lo, s19
	s_or_b32 s7, s27, s7
	s_andn2_b32 s18, s18, exec_lo
	s_and_b32 s27, s26, exec_lo
	s_or_b32 s18, s18, s27
	s_andn2_b32 exec_lo, exec_lo, s7
	s_cbranch_execz .LBB28_34
.LBB28_25:                              ;   Parent Loop BB28_16 Depth=1
                                        ; =>  This Inner Loop Header: Depth=2
	v_and_b32_e32 v13, 63, v14
	s_or_b32 s26, s26, exec_lo
	s_or_b32 s19, s19, exec_lo
	s_mov_b32 s27, exec_lo
	v_lshl_add_u32 v15, v13, 2, v19
	ds_read_b32 v20, v15
	s_waitcnt lgkmcnt(0)
	v_cmpx_ne_u32_e64 v20, v9
	s_cbranch_execz .LBB28_24
; %bb.26:                               ;   in Loop: Header=BB28_25 Depth=2
	ds_cmpst_rtn_b32 v15, v15, v11, v9
	s_mov_b32 s29, -1
	s_mov_b32 s30, 0
	s_mov_b32 s28, exec_lo
	s_waitcnt lgkmcnt(0)
	v_cmpx_ne_u32_e32 -1, v15
	s_cbranch_execz .LBB28_23
; %bb.27:                               ;   in Loop: Header=BB28_25 Depth=2
	v_add_nc_u32_e32 v13, 1, v14
	s_mov_b32 s31, -1
	s_mov_b32 s30, -1
	s_mov_b32 s29, exec_lo
	v_and_b32_e32 v13, 63, v13
	v_lshl_add_u32 v15, v13, 2, v19
	ds_read_b32 v20, v15
	s_waitcnt lgkmcnt(0)
	v_cmpx_ne_u32_e64 v20, v9
	s_cbranch_execz .LBB28_22
; %bb.28:                               ;   in Loop: Header=BB28_25 Depth=2
	ds_cmpst_rtn_b32 v15, v15, v11, v9
	s_mov_b32 s33, 0
	s_mov_b32 s30, exec_lo
	s_waitcnt lgkmcnt(0)
	v_cmpx_ne_u32_e32 -1, v15
	s_cbranch_execz .LBB28_21
; %bb.29:                               ;   in Loop: Header=BB28_25 Depth=2
	v_add_nc_u32_e32 v13, 2, v14
	s_mov_b32 s34, -1
	s_mov_b32 s33, -1
	s_mov_b32 s31, exec_lo
	v_and_b32_e32 v13, 63, v13
	v_lshl_add_u32 v15, v13, 2, v19
	ds_read_b32 v20, v15
	s_waitcnt lgkmcnt(0)
	v_cmpx_ne_u32_e64 v20, v9
	s_cbranch_execz .LBB28_20
; %bb.30:                               ;   in Loop: Header=BB28_25 Depth=2
	ds_cmpst_rtn_b32 v15, v15, v11, v9
	s_mov_b32 s35, 0
	s_mov_b32 s33, exec_lo
	s_waitcnt lgkmcnt(0)
	v_cmpx_ne_u32_e32 -1, v15
	s_cbranch_execz .LBB28_19
; %bb.31:                               ;   in Loop: Header=BB28_25 Depth=2
	v_add_nc_u32_e32 v13, 3, v14
	s_mov_b32 s36, -1
	s_mov_b32 s35, -1
	v_and_b32_e32 v13, 63, v13
	v_lshl_add_u32 v15, v13, 2, v19
	ds_read_b32 v14, v15
	s_waitcnt lgkmcnt(0)
	v_cmp_ne_u32_e32 vcc_lo, v14, v9
                                        ; implicit-def: $vgpr14
	s_and_saveexec_b32 s34, vcc_lo
	s_cbranch_execz .LBB28_18
; %bb.32:                               ;   in Loop: Header=BB28_25 Depth=2
	ds_cmpst_rtn_b32 v14, v15, v11, v9
	s_mov_b32 s35, 0
	s_waitcnt lgkmcnt(0)
	v_cmp_ne_u32_e32 vcc_lo, -1, v14
                                        ; implicit-def: $vgpr14
	s_and_saveexec_b32 s37, vcc_lo
	s_cbranch_execz .LBB28_17
; %bb.33:                               ;   in Loop: Header=BB28_25 Depth=2
	v_add_nc_u32_e32 v12, -4, v12
	v_add_nc_u32_e32 v14, 1, v13
	s_mov_b32 s35, exec_lo
	v_cmp_eq_u32_e32 vcc_lo, 0, v12
	s_orn2_b32 s36, vcc_lo, exec_lo
	s_branch .LBB28_17
.LBB28_34:                              ;   in Loop: Header=BB28_16 Depth=1
	s_or_b32 exec_lo, exec_lo, s7
	s_xor_b32 s7, s18, -1
	s_and_saveexec_b32 s18, s7
	s_xor_b32 s7, exec_lo, s18
	s_cbranch_execz .LBB28_15
; %bb.35:                               ;   in Loop: Header=BB28_16 Depth=1
	v_lshl_add_u32 v9, v13, 2, v0
	ds_write_b32 v9, v8
	s_branch .LBB28_15
.LBB28_36:
	s_or_b32 exec_lo, exec_lo, s0
	s_mov_b32 s6, exec_lo
	s_waitcnt vmcnt(0) lgkmcnt(0)
	buffer_gl0_inv
	v_cmpx_lt_i32_e64 v7, v6
	s_cbranch_execz .LBB28_66
; %bb.37:
	v_add_nc_u32_e32 v20, 1, v16
	s_mov_b32 s7, 0
	s_branch .LBB28_40
.LBB28_38:                              ;   in Loop: Header=BB28_40 Depth=1
	s_or_b32 exec_lo, exec_lo, s18
	v_add_nc_u32_e32 v7, 1, v7
	v_cmp_ge_i32_e32 vcc_lo, v7, v6
	s_orn2_b32 s18, vcc_lo, exec_lo
.LBB28_39:                              ;   in Loop: Header=BB28_40 Depth=1
	s_or_b32 exec_lo, exec_lo, s0
	s_and_b32 s0, exec_lo, s18
	s_or_b32 s7, s0, s7
	s_andn2_b32 exec_lo, exec_lo, s7
	s_cbranch_execz .LBB28_66
.LBB28_40:                              ; =>This Loop Header: Depth=1
                                        ;     Child Loop BB28_41 Depth 2
                                        ;     Child Loop BB28_46 Depth 2
                                        ;       Child Loop BB28_55 Depth 3
	v_ashrrev_i32_e32 v8, 31, v7
	s_mov_b32 s0, 0
	v_lshlrev_b64 v[9:10], 2, v[7:8]
	v_lshlrev_b64 v[12:13], 3, v[7:8]
	v_add_co_u32 v9, vcc_lo, s10, v9
	v_add_co_ci_u32_e64 v10, null, s11, v10, vcc_lo
	v_add_co_u32 v12, vcc_lo, s12, v12
	v_add_co_ci_u32_e64 v13, null, s13, v13, vcc_lo
	global_load_dword v9, v[9:10], off
	s_waitcnt vmcnt(0)
	v_subrev_nc_u32_e32 v9, s2, v9
	v_ashrrev_i32_e32 v10, 31, v9
	v_lshlrev_b64 v[10:11], 2, v[9:10]
	v_add_co_u32 v14, vcc_lo, s8, v10
	v_add_co_ci_u32_e64 v15, null, s9, v11, vcc_lo
	v_add_co_u32 v21, vcc_lo, s14, v10
	v_add_co_ci_u32_e64 v22, null, s15, v11, vcc_lo
	global_load_dwordx2 v[8:9], v[12:13], off
	global_load_dword v14, v[14:15], off offset:4
	global_load_dword v15, v[21:22], off
	v_add_co_u32 v10, vcc_lo, s16, v10
	v_add_co_ci_u32_e64 v11, null, s17, v11, vcc_lo
.LBB28_41:                              ;   Parent Loop BB28_40 Depth=1
                                        ; =>  This Inner Loop Header: Depth=2
	global_load_dword v21, v[10:11], off glc dlc
	s_waitcnt vmcnt(0)
	v_cmp_ne_u32_e32 vcc_lo, 0, v21
	s_or_b32 s0, vcc_lo, s0
	s_andn2_b32 exec_lo, exec_lo, s0
	s_cbranch_execnz .LBB28_41
; %bb.42:                               ;   in Loop: Header=BB28_40 Depth=1
	s_or_b32 exec_lo, exec_lo, s0
	v_subrev_nc_u32_e32 v21, s2, v14
	v_cmp_eq_u32_e32 vcc_lo, -1, v15
	buffer_gl1_inv
	buffer_gl0_inv
	s_mov_b32 s18, -1
	v_add_nc_u32_e32 v10, -1, v21
	v_cndmask_b32_e32 v10, v15, v10, vcc_lo
	v_ashrrev_i32_e32 v11, 31, v10
	v_lshlrev_b64 v[14:15], 3, v[10:11]
	v_add_co_u32 v14, vcc_lo, s12, v14
	v_add_co_ci_u32_e64 v15, null, s13, v15, vcc_lo
	global_load_dwordx2 v[14:15], v[14:15], off
	s_waitcnt vmcnt(0)
	v_cmp_neq_f32_e32 vcc_lo, 0, v14
	v_cmp_neq_f32_e64 s0, 0, v15
	s_or_b32 s19, vcc_lo, s0
	s_and_saveexec_b32 s0, s19
	s_cbranch_execz .LBB28_39
; %bb.43:                               ;   in Loop: Header=BB28_40 Depth=1
	v_mul_f32_e32 v11, v15, v15
	s_mov_b32 s18, exec_lo
	v_fmac_f32_e32 v11, v14, v14
	v_div_scale_f32 v22, null, v11, v11, 1.0
	v_div_scale_f32 v25, vcc_lo, 1.0, v11, 1.0
	v_rcp_f32_e32 v23, v22
	v_fma_f32 v24, -v22, v23, 1.0
	v_fmac_f32_e32 v23, v24, v23
	v_mul_f32_e32 v24, v25, v23
	v_fma_f32 v26, -v22, v24, v25
	v_fmac_f32_e32 v24, v26, v23
	v_fma_f32 v22, -v22, v24, v25
	v_mul_f32_e32 v25, v9, v15
	v_mul_f32_e64 v15, v15, -v8
	v_div_fmas_f32 v22, v22, v23, v24
	v_fmac_f32_e32 v25, v8, v14
	v_fmac_f32_e32 v15, v9, v14
	v_add_nc_u32_e32 v8, v20, v10
	v_div_fixup_f32 v11, v22, v11, 1.0
	v_mul_f32_e32 v10, v25, v11
	v_mul_f32_e32 v11, v15, v11
	global_store_dwordx2 v[12:13], v[10:11], off
	v_cmpx_lt_i32_e64 v8, v21
	s_cbranch_execz .LBB28_38
; %bb.44:                               ;   in Loop: Header=BB28_40 Depth=1
	s_mov_b32 s19, 0
	s_branch .LBB28_46
.LBB28_45:                              ;   in Loop: Header=BB28_46 Depth=2
	s_or_b32 exec_lo, exec_lo, s26
	v_add_nc_u32_e32 v8, 32, v8
	v_cmp_ge_i32_e32 vcc_lo, v8, v21
	s_or_b32 s19, vcc_lo, s19
	s_andn2_b32 exec_lo, exec_lo, s19
	s_cbranch_execz .LBB28_38
.LBB28_46:                              ;   Parent Loop BB28_40 Depth=1
                                        ; =>  This Loop Header: Depth=2
                                        ;       Child Loop BB28_55 Depth 3
	v_ashrrev_i32_e32 v9, 31, v8
	s_mov_b32 s26, 0
                                        ; implicit-def: $sgpr27
                                        ; implicit-def: $sgpr28
                                        ; implicit-def: $sgpr29
	v_lshlrev_b64 v[12:13], 2, v[8:9]
	v_add_co_u32 v12, vcc_lo, s10, v12
	v_add_co_ci_u32_e64 v13, null, s11, v13, vcc_lo
	global_load_dword v12, v[12:13], off
	v_mov_b32_e32 v13, 64
	s_waitcnt vmcnt(0)
	v_mul_lo_u32 v15, v12, 39
	s_branch .LBB28_55
.LBB28_47:                              ;   in Loop: Header=BB28_55 Depth=3
	s_or_b32 exec_lo, exec_lo, s40
	s_orn2_b32 s38, s38, exec_lo
	s_orn2_b32 s39, s39, exec_lo
.LBB28_48:                              ;   in Loop: Header=BB28_55 Depth=3
	s_or_b32 exec_lo, exec_lo, s37
	s_and_b32 s38, s38, exec_lo
	s_orn2_b32 s37, s39, exec_lo
.LBB28_49:                              ;   in Loop: Header=BB28_55 Depth=3
	s_or_b32 exec_lo, exec_lo, s36
	s_orn2_b32 s36, s38, exec_lo
	s_orn2_b32 s37, s37, exec_lo
.LBB28_50:                              ;   in Loop: Header=BB28_55 Depth=3
	s_or_b32 exec_lo, exec_lo, s35
	s_and_b32 s36, s36, exec_lo
	s_orn2_b32 s35, s37, exec_lo
.LBB28_51:                              ;   in Loop: Header=BB28_55 Depth=3
	s_or_b32 exec_lo, exec_lo, s34
	s_orn2_b32 s34, s36, exec_lo
	s_orn2_b32 s35, s35, exec_lo
.LBB28_52:                              ;   in Loop: Header=BB28_55 Depth=3
	s_or_b32 exec_lo, exec_lo, s33
	s_and_b32 s34, s34, exec_lo
	s_orn2_b32 s33, s35, exec_lo
.LBB28_53:                              ;   in Loop: Header=BB28_55 Depth=3
	s_or_b32 exec_lo, exec_lo, s31
	s_andn2_b32 s29, s29, exec_lo
	s_and_b32 s31, s34, exec_lo
	s_andn2_b32 s28, s28, exec_lo
	s_and_b32 s33, s33, exec_lo
	s_or_b32 s29, s29, s31
	s_or_b32 s28, s28, s33
.LBB28_54:                              ;   in Loop: Header=BB28_55 Depth=3
	s_or_b32 exec_lo, exec_lo, s30
	s_and_b32 s30, exec_lo, s28
	s_or_b32 s26, s30, s26
	s_andn2_b32 s27, s27, exec_lo
	s_and_b32 s30, s29, exec_lo
	s_or_b32 s27, s27, s30
	s_andn2_b32 exec_lo, exec_lo, s26
	s_cbranch_execz .LBB28_64
.LBB28_55:                              ;   Parent Loop BB28_40 Depth=1
                                        ;     Parent Loop BB28_46 Depth=2
                                        ; =>    This Inner Loop Header: Depth=3
	v_and_b32_e32 v14, 63, v15
	s_or_b32 s29, s29, exec_lo
	s_or_b32 s28, s28, exec_lo
	s_mov_b32 s30, exec_lo
	v_lshl_add_u32 v22, v14, 2, v19
	ds_read_b32 v22, v22
	s_waitcnt lgkmcnt(0)
	v_cmpx_ne_u32_e32 -1, v22
	s_cbranch_execz .LBB28_54
; %bb.56:                               ;   in Loop: Header=BB28_55 Depth=3
	s_mov_b32 s33, -1
	s_mov_b32 s34, 0
	s_mov_b32 s31, exec_lo
	v_cmpx_ne_u32_e64 v22, v12
	s_cbranch_execz .LBB28_53
; %bb.57:                               ;   in Loop: Header=BB28_55 Depth=3
	v_add_nc_u32_e32 v14, 1, v15
	s_mov_b32 s35, -1
	s_mov_b32 s34, -1
	s_mov_b32 s33, exec_lo
	v_and_b32_e32 v14, 63, v14
	v_lshl_add_u32 v22, v14, 2, v19
	ds_read_b32 v22, v22
	s_waitcnt lgkmcnt(0)
	v_cmpx_ne_u32_e32 -1, v22
	s_cbranch_execz .LBB28_52
; %bb.58:                               ;   in Loop: Header=BB28_55 Depth=3
	s_mov_b32 s36, 0
	s_mov_b32 s34, exec_lo
	v_cmpx_ne_u32_e64 v22, v12
	s_cbranch_execz .LBB28_51
; %bb.59:                               ;   in Loop: Header=BB28_55 Depth=3
	v_add_nc_u32_e32 v14, 2, v15
	s_mov_b32 s37, -1
	s_mov_b32 s36, -1
	s_mov_b32 s35, exec_lo
	v_and_b32_e32 v14, 63, v14
	v_lshl_add_u32 v22, v14, 2, v19
	ds_read_b32 v22, v22
	s_waitcnt lgkmcnt(0)
	v_cmpx_ne_u32_e32 -1, v22
	s_cbranch_execz .LBB28_50
; %bb.60:                               ;   in Loop: Header=BB28_55 Depth=3
	s_mov_b32 s38, 0
	s_mov_b32 s36, exec_lo
	v_cmpx_ne_u32_e64 v22, v12
	s_cbranch_execz .LBB28_49
; %bb.61:                               ;   in Loop: Header=BB28_55 Depth=3
	v_add_nc_u32_e32 v14, 3, v15
	s_mov_b32 s39, -1
	s_mov_b32 s38, -1
	s_mov_b32 s37, exec_lo
	v_and_b32_e32 v14, 63, v14
	v_lshl_add_u32 v15, v14, 2, v19
	ds_read_b32 v22, v15
                                        ; implicit-def: $vgpr15
	s_waitcnt lgkmcnt(0)
	v_cmpx_ne_u32_e32 -1, v22
	s_cbranch_execz .LBB28_48
; %bb.62:                               ;   in Loop: Header=BB28_55 Depth=3
	s_mov_b32 s38, 0
	s_mov_b32 s40, exec_lo
                                        ; implicit-def: $vgpr15
	v_cmpx_ne_u32_e64 v22, v12
	s_cbranch_execz .LBB28_47
; %bb.63:                               ;   in Loop: Header=BB28_55 Depth=3
	v_add_nc_u32_e32 v13, -4, v13
	v_add_nc_u32_e32 v15, 1, v14
	s_mov_b32 s38, exec_lo
	v_cmp_eq_u32_e32 vcc_lo, 0, v13
	s_orn2_b32 s39, vcc_lo, exec_lo
	s_branch .LBB28_47
.LBB28_64:                              ;   in Loop: Header=BB28_46 Depth=2
	s_or_b32 exec_lo, exec_lo, s26
	s_xor_b32 s26, s27, -1
	s_and_saveexec_b32 s27, s26
	s_xor_b32 s26, exec_lo, s27
	s_cbranch_execz .LBB28_45
; %bb.65:                               ;   in Loop: Header=BB28_46 Depth=2
	v_lshl_add_u32 v12, v14, 2, v0
	v_lshlrev_b64 v[14:15], 3, v[8:9]
	ds_read_b32 v12, v12
	v_add_co_u32 v14, vcc_lo, s12, v14
	v_add_co_ci_u32_e64 v15, null, s13, v15, vcc_lo
	s_waitcnt lgkmcnt(0)
	v_ashrrev_i32_e32 v13, 31, v12
	v_lshlrev_b64 v[12:13], 3, v[12:13]
	v_add_co_u32 v12, vcc_lo, s12, v12
	v_add_co_ci_u32_e64 v13, null, s13, v13, vcc_lo
	s_clause 0x1
	global_load_dwordx2 v[14:15], v[14:15], off
	global_load_dwordx2 v[22:23], v[12:13], off
	s_waitcnt vmcnt(0)
	v_fma_f32 v22, -v10, v14, v22
	v_fma_f32 v9, -v11, v14, v23
	v_fmac_f32_e32 v22, v11, v15
	v_fma_f32 v23, -v10, v15, v9
	global_store_dwordx2 v[12:13], v[22:23], off
	s_branch .LBB28_45
.LBB28_66:
	s_or_b32 exec_lo, exec_lo, s6
	s_mov_b32 s6, exec_lo
	s_waitcnt_vscnt null, 0x0
	buffer_gl0_inv
	v_cmpx_lt_i32_e32 -1, v6
	s_cbranch_execz .LBB28_88
; %bb.67:
	v_mov_b32_e32 v7, 0
	s_mov_b32 s0, exec_lo
	v_lshlrev_b64 v[8:9], 3, v[6:7]
	v_add_co_u32 v10, vcc_lo, s12, v8
	v_add_co_ci_u32_e64 v11, null, s13, v9, vcc_lo
	global_load_dwordx2 v[8:9], v[10:11], off
	s_waitcnt vmcnt(0)
	v_cmp_gt_f32_e32 vcc_lo, 0, v8
	v_cndmask_b32_e64 v0, v8, -v8, vcc_lo
	v_cmp_gt_f32_e32 vcc_lo, 0, v9
	v_cndmask_b32_e64 v6, v9, -v9, vcc_lo
	v_cmpx_ngt_f32_e32 v0, v6
	s_xor_b32 s7, exec_lo, s0
	s_cbranch_execz .LBB28_71
; %bb.68:
	s_mov_b32 s8, exec_lo
	v_cmpx_neq_f32_e32 0, v9
	s_cbranch_execz .LBB28_70
; %bb.69:
	v_div_scale_f32 v7, null, v6, v6, v0
	v_div_scale_f32 v14, vcc_lo, v0, v6, v0
	v_rcp_f32_e32 v12, v7
	v_fma_f32 v13, -v7, v12, 1.0
	v_fmac_f32_e32 v12, v13, v12
	v_mul_f32_e32 v13, v14, v12
	v_fma_f32 v15, -v7, v13, v14
	v_fmac_f32_e32 v13, v15, v12
	v_fma_f32 v7, -v7, v13, v14
	v_div_fmas_f32 v7, v7, v12, v13
	v_div_fixup_f32 v0, v7, v6, v0
	v_fma_f32 v0, v0, v0, 1.0
	v_mul_f32_e32 v7, 0x4f800000, v0
	v_cmp_gt_f32_e32 vcc_lo, 0xf800000, v0
	v_cndmask_b32_e32 v0, v0, v7, vcc_lo
	v_sqrt_f32_e32 v7, v0
	v_add_nc_u32_e32 v12, -1, v7
	v_add_nc_u32_e32 v13, 1, v7
	v_fma_f32 v14, -v12, v7, v0
	v_fma_f32 v15, -v13, v7, v0
	v_cmp_ge_f32_e64 s0, 0, v14
	v_cndmask_b32_e64 v7, v7, v12, s0
	v_cmp_lt_f32_e64 s0, 0, v15
	v_cndmask_b32_e64 v7, v7, v13, s0
	v_mul_f32_e32 v12, 0x37800000, v7
	v_cndmask_b32_e32 v7, v7, v12, vcc_lo
	v_cmp_class_f32_e64 vcc_lo, v0, 0x260
	v_cndmask_b32_e32 v0, v7, v0, vcc_lo
	v_mul_f32_e32 v7, v6, v0
.LBB28_70:
	s_or_b32 exec_lo, exec_lo, s8
                                        ; implicit-def: $vgpr0
                                        ; implicit-def: $vgpr6
.LBB28_71:
	s_andn2_saveexec_b32 s7, s7
	s_cbranch_execz .LBB28_73
; %bb.72:
	v_div_scale_f32 v7, null, v0, v0, v6
	v_div_scale_f32 v14, vcc_lo, v6, v0, v6
	v_rcp_f32_e32 v12, v7
	v_fma_f32 v13, -v7, v12, 1.0
	v_fmac_f32_e32 v12, v13, v12
	v_mul_f32_e32 v13, v14, v12
	v_fma_f32 v15, -v7, v13, v14
	v_fmac_f32_e32 v13, v15, v12
	v_fma_f32 v7, -v7, v13, v14
	v_div_fmas_f32 v7, v7, v12, v13
	v_div_fixup_f32 v6, v7, v0, v6
	v_fma_f32 v6, v6, v6, 1.0
	v_mul_f32_e32 v7, 0x4f800000, v6
	v_cmp_gt_f32_e32 vcc_lo, 0xf800000, v6
	v_cndmask_b32_e32 v6, v6, v7, vcc_lo
	v_sqrt_f32_e32 v7, v6
	v_add_nc_u32_e32 v12, -1, v7
	v_add_nc_u32_e32 v13, 1, v7
	v_fma_f32 v14, -v12, v7, v6
	v_fma_f32 v15, -v13, v7, v6
	v_cmp_ge_f32_e64 s0, 0, v14
	v_cndmask_b32_e64 v7, v7, v12, s0
	v_cmp_lt_f32_e64 s0, 0, v15
	v_cndmask_b32_e64 v7, v7, v13, s0
	v_mul_f32_e32 v12, 0x37800000, v7
	v_cndmask_b32_e32 v7, v7, v12, vcc_lo
	v_cmp_class_f32_e64 vcc_lo, v6, 0x260
	v_cndmask_b32_e32 v6, v7, v6, vcc_lo
	v_mul_f32_e32 v7, v0, v6
.LBB28_73:
	s_or_b32 exec_lo, exec_lo, s7
	v_cvt_f64_f32_e32 v[6:7], v7
	v_cmp_ne_u32_e32 vcc_lo, 1, v18
	v_cmp_eq_u32_e64 s0, 0, v16
	s_mov_b32 s7, -1
	s_cbranch_vccnz .LBB28_77
; %bb.74:
	v_cvt_f64_f32_e32 v[12:13], v17
	s_cmp_eq_u64 s[24:25], 8
	s_cselect_b32 vcc_lo, -1, 0
	v_cndmask_b32_e32 v4, v13, v4, vcc_lo
	v_cndmask_b32_e32 v3, v12, v3, vcc_lo
	v_cmp_ge_f64_e32 vcc_lo, v[3:4], v[6:7]
	s_and_b32 s8, s0, vcc_lo
	s_and_saveexec_b32 s7, s8
	s_cbranch_execz .LBB28_76
; %bb.75:
	v_mov_b32_e32 v3, s1
	v_mov_b32_e32 v4, s3
	global_store_dwordx2 v[10:11], v[3:4], off
	s_waitcnt_vscnt null, 0x0
	buffer_gl1_inv
	buffer_gl0_inv
.LBB28_76:
	s_or_b32 exec_lo, exec_lo, s7
	s_mov_b32 s7, 0
.LBB28_77:
	s_andn2_b32 vcc_lo, exec_lo, s7
	s_cbranch_vccnz .LBB28_88
; %bb.78:
	s_load_dwordx2 s[4:5], s[4:5], 0x48
	v_add_nc_u32_e32 v0, s2, v5
	s_waitcnt lgkmcnt(0)
	v_cmp_ge_f64_e32 vcc_lo, s[4:5], v[6:7]
	s_and_b32 s2, s0, vcc_lo
	s_and_saveexec_b32 s1, s2
	s_cbranch_execz .LBB28_83
; %bb.79:
	s_mov_b32 s3, exec_lo
	s_brev_b32 s2, -2
.LBB28_80:                              ; =>This Inner Loop Header: Depth=1
	s_ff1_i32_b32 s4, s3
	v_readlane_b32 s5, v0, s4
	s_lshl_b32 s4, 1, s4
	s_andn2_b32 s3, s3, s4
	s_min_i32 s2, s2, s5
	s_cmp_lg_u32 s3, 0
	s_cbranch_scc1 .LBB28_80
; %bb.81:
	v_mbcnt_lo_u32_b32 v3, exec_lo, 0
	s_mov_b32 s3, exec_lo
	v_cmpx_eq_u32_e32 0, v3
	s_xor_b32 s3, exec_lo, s3
	s_cbranch_execz .LBB28_83
; %bb.82:
	v_mov_b32_e32 v3, 0
	v_mov_b32_e32 v4, s2
	global_atomic_smin v3, v4, s[22:23]
.LBB28_83:
	s_or_b32 exec_lo, exec_lo, s1
	v_cmp_eq_f32_e32 vcc_lo, 0, v8
	v_cmp_eq_f32_e64 s1, 0, v9
	s_and_b32 s1, vcc_lo, s1
	s_and_b32 s0, s0, s1
	s_and_b32 exec_lo, exec_lo, s0
	s_cbranch_execz .LBB28_88
; %bb.84:
	s_mov_b32 s1, exec_lo
	s_brev_b32 s0, -2
.LBB28_85:                              ; =>This Inner Loop Header: Depth=1
	s_ff1_i32_b32 s2, s1
	v_readlane_b32 s3, v0, s2
	s_lshl_b32 s2, 1, s2
	s_andn2_b32 s1, s1, s2
	s_min_i32 s0, s0, s3
	s_cmp_lg_u32 s1, 0
	s_cbranch_scc1 .LBB28_85
; %bb.86:
	v_mbcnt_lo_u32_b32 v0, exec_lo, 0
	s_mov_b32 s1, exec_lo
	v_cmpx_eq_u32_e32 0, v0
	s_xor_b32 s1, exec_lo, s1
	s_cbranch_execz .LBB28_88
; %bb.87:
	v_mov_b32_e32 v0, 0
	v_mov_b32_e32 v3, s0
	global_atomic_smin v0, v3, s[20:21]
.LBB28_88:
	s_or_b32 exec_lo, exec_lo, s6
	v_cmp_eq_u32_e32 vcc_lo, 0, v16
	s_waitcnt_vscnt null, 0x0
	buffer_gl1_inv
	buffer_gl0_inv
	s_and_b32 exec_lo, exec_lo, vcc_lo
	s_cbranch_execz .LBB28_90
; %bb.89:
	v_add_co_u32 v0, vcc_lo, s16, v1
	v_add_co_ci_u32_e64 v1, null, s17, v2, vcc_lo
	v_mov_b32_e32 v2, 1
	global_store_dword v[0:1], v2, off
.LBB28_90:
	s_endpgm
	.section	.rodata,"a",@progbits
	.p2align	6, 0x0
	.amdhsa_kernel _ZN9rocsparseL12csrilu0_hashILj256ELj32ELj2E21rocsparse_complex_numIfEEEviPKiS4_PT2_S4_PiS4_S7_S7_d21rocsparse_index_base_imNS_24const_host_device_scalarIfEENS9_IdEENS9_IS5_EEb
		.amdhsa_group_segment_fixed_size 4096
		.amdhsa_private_segment_fixed_size 0
		.amdhsa_kernarg_size 124
		.amdhsa_user_sgpr_count 6
		.amdhsa_user_sgpr_private_segment_buffer 1
		.amdhsa_user_sgpr_dispatch_ptr 0
		.amdhsa_user_sgpr_queue_ptr 0
		.amdhsa_user_sgpr_kernarg_segment_ptr 1
		.amdhsa_user_sgpr_dispatch_id 0
		.amdhsa_user_sgpr_flat_scratch_init 0
		.amdhsa_user_sgpr_private_segment_size 0
		.amdhsa_wavefront_size32 1
		.amdhsa_uses_dynamic_stack 0
		.amdhsa_system_sgpr_private_segment_wavefront_offset 0
		.amdhsa_system_sgpr_workgroup_id_x 1
		.amdhsa_system_sgpr_workgroup_id_y 0
		.amdhsa_system_sgpr_workgroup_id_z 0
		.amdhsa_system_sgpr_workgroup_info 0
		.amdhsa_system_vgpr_workitem_id 0
		.amdhsa_next_free_vgpr 27
		.amdhsa_next_free_sgpr 41
		.amdhsa_reserve_vcc 1
		.amdhsa_reserve_flat_scratch 0
		.amdhsa_float_round_mode_32 0
		.amdhsa_float_round_mode_16_64 0
		.amdhsa_float_denorm_mode_32 3
		.amdhsa_float_denorm_mode_16_64 3
		.amdhsa_dx10_clamp 1
		.amdhsa_ieee_mode 1
		.amdhsa_fp16_overflow 0
		.amdhsa_workgroup_processor_mode 1
		.amdhsa_memory_ordered 1
		.amdhsa_forward_progress 1
		.amdhsa_shared_vgpr_count 0
		.amdhsa_exception_fp_ieee_invalid_op 0
		.amdhsa_exception_fp_denorm_src 0
		.amdhsa_exception_fp_ieee_div_zero 0
		.amdhsa_exception_fp_ieee_overflow 0
		.amdhsa_exception_fp_ieee_underflow 0
		.amdhsa_exception_fp_ieee_inexact 0
		.amdhsa_exception_int_div_zero 0
	.end_amdhsa_kernel
	.section	.text._ZN9rocsparseL12csrilu0_hashILj256ELj32ELj2E21rocsparse_complex_numIfEEEviPKiS4_PT2_S4_PiS4_S7_S7_d21rocsparse_index_base_imNS_24const_host_device_scalarIfEENS9_IdEENS9_IS5_EEb,"axG",@progbits,_ZN9rocsparseL12csrilu0_hashILj256ELj32ELj2E21rocsparse_complex_numIfEEEviPKiS4_PT2_S4_PiS4_S7_S7_d21rocsparse_index_base_imNS_24const_host_device_scalarIfEENS9_IdEENS9_IS5_EEb,comdat
.Lfunc_end28:
	.size	_ZN9rocsparseL12csrilu0_hashILj256ELj32ELj2E21rocsparse_complex_numIfEEEviPKiS4_PT2_S4_PiS4_S7_S7_d21rocsparse_index_base_imNS_24const_host_device_scalarIfEENS9_IdEENS9_IS5_EEb, .Lfunc_end28-_ZN9rocsparseL12csrilu0_hashILj256ELj32ELj2E21rocsparse_complex_numIfEEEviPKiS4_PT2_S4_PiS4_S7_S7_d21rocsparse_index_base_imNS_24const_host_device_scalarIfEENS9_IdEENS9_IS5_EEb
                                        ; -- End function
	.set _ZN9rocsparseL12csrilu0_hashILj256ELj32ELj2E21rocsparse_complex_numIfEEEviPKiS4_PT2_S4_PiS4_S7_S7_d21rocsparse_index_base_imNS_24const_host_device_scalarIfEENS9_IdEENS9_IS5_EEb.num_vgpr, 27
	.set _ZN9rocsparseL12csrilu0_hashILj256ELj32ELj2E21rocsparse_complex_numIfEEEviPKiS4_PT2_S4_PiS4_S7_S7_d21rocsparse_index_base_imNS_24const_host_device_scalarIfEENS9_IdEENS9_IS5_EEb.num_agpr, 0
	.set _ZN9rocsparseL12csrilu0_hashILj256ELj32ELj2E21rocsparse_complex_numIfEEEviPKiS4_PT2_S4_PiS4_S7_S7_d21rocsparse_index_base_imNS_24const_host_device_scalarIfEENS9_IdEENS9_IS5_EEb.numbered_sgpr, 41
	.set _ZN9rocsparseL12csrilu0_hashILj256ELj32ELj2E21rocsparse_complex_numIfEEEviPKiS4_PT2_S4_PiS4_S7_S7_d21rocsparse_index_base_imNS_24const_host_device_scalarIfEENS9_IdEENS9_IS5_EEb.num_named_barrier, 0
	.set _ZN9rocsparseL12csrilu0_hashILj256ELj32ELj2E21rocsparse_complex_numIfEEEviPKiS4_PT2_S4_PiS4_S7_S7_d21rocsparse_index_base_imNS_24const_host_device_scalarIfEENS9_IdEENS9_IS5_EEb.private_seg_size, 0
	.set _ZN9rocsparseL12csrilu0_hashILj256ELj32ELj2E21rocsparse_complex_numIfEEEviPKiS4_PT2_S4_PiS4_S7_S7_d21rocsparse_index_base_imNS_24const_host_device_scalarIfEENS9_IdEENS9_IS5_EEb.uses_vcc, 1
	.set _ZN9rocsparseL12csrilu0_hashILj256ELj32ELj2E21rocsparse_complex_numIfEEEviPKiS4_PT2_S4_PiS4_S7_S7_d21rocsparse_index_base_imNS_24const_host_device_scalarIfEENS9_IdEENS9_IS5_EEb.uses_flat_scratch, 0
	.set _ZN9rocsparseL12csrilu0_hashILj256ELj32ELj2E21rocsparse_complex_numIfEEEviPKiS4_PT2_S4_PiS4_S7_S7_d21rocsparse_index_base_imNS_24const_host_device_scalarIfEENS9_IdEENS9_IS5_EEb.has_dyn_sized_stack, 0
	.set _ZN9rocsparseL12csrilu0_hashILj256ELj32ELj2E21rocsparse_complex_numIfEEEviPKiS4_PT2_S4_PiS4_S7_S7_d21rocsparse_index_base_imNS_24const_host_device_scalarIfEENS9_IdEENS9_IS5_EEb.has_recursion, 0
	.set _ZN9rocsparseL12csrilu0_hashILj256ELj32ELj2E21rocsparse_complex_numIfEEEviPKiS4_PT2_S4_PiS4_S7_S7_d21rocsparse_index_base_imNS_24const_host_device_scalarIfEENS9_IdEENS9_IS5_EEb.has_indirect_call, 0
	.section	.AMDGPU.csdata,"",@progbits
; Kernel info:
; codeLenInByte = 3236
; TotalNumSgprs: 43
; NumVgprs: 27
; ScratchSize: 0
; MemoryBound: 0
; FloatMode: 240
; IeeeMode: 1
; LDSByteSize: 4096 bytes/workgroup (compile time only)
; SGPRBlocks: 0
; VGPRBlocks: 3
; NumSGPRsForWavesPerEU: 43
; NumVGPRsForWavesPerEU: 27
; Occupancy: 16
; WaveLimiterHint : 1
; COMPUTE_PGM_RSRC2:SCRATCH_EN: 0
; COMPUTE_PGM_RSRC2:USER_SGPR: 6
; COMPUTE_PGM_RSRC2:TRAP_HANDLER: 0
; COMPUTE_PGM_RSRC2:TGID_X_EN: 1
; COMPUTE_PGM_RSRC2:TGID_Y_EN: 0
; COMPUTE_PGM_RSRC2:TGID_Z_EN: 0
; COMPUTE_PGM_RSRC2:TIDIG_COMP_CNT: 0
	.section	.text._ZN9rocsparseL12csrilu0_hashILj256ELj32ELj4E21rocsparse_complex_numIfEEEviPKiS4_PT2_S4_PiS4_S7_S7_d21rocsparse_index_base_imNS_24const_host_device_scalarIfEENS9_IdEENS9_IS5_EEb,"axG",@progbits,_ZN9rocsparseL12csrilu0_hashILj256ELj32ELj4E21rocsparse_complex_numIfEEEviPKiS4_PT2_S4_PiS4_S7_S7_d21rocsparse_index_base_imNS_24const_host_device_scalarIfEENS9_IdEENS9_IS5_EEb,comdat
	.globl	_ZN9rocsparseL12csrilu0_hashILj256ELj32ELj4E21rocsparse_complex_numIfEEEviPKiS4_PT2_S4_PiS4_S7_S7_d21rocsparse_index_base_imNS_24const_host_device_scalarIfEENS9_IdEENS9_IS5_EEb ; -- Begin function _ZN9rocsparseL12csrilu0_hashILj256ELj32ELj4E21rocsparse_complex_numIfEEEviPKiS4_PT2_S4_PiS4_S7_S7_d21rocsparse_index_base_imNS_24const_host_device_scalarIfEENS9_IdEENS9_IS5_EEb
	.p2align	8
	.type	_ZN9rocsparseL12csrilu0_hashILj256ELj32ELj4E21rocsparse_complex_numIfEEEviPKiS4_PT2_S4_PiS4_S7_S7_d21rocsparse_index_base_imNS_24const_host_device_scalarIfEENS9_IdEENS9_IS5_EEb,@function
_ZN9rocsparseL12csrilu0_hashILj256ELj32ELj4E21rocsparse_complex_numIfEEEviPKiS4_PT2_S4_PiS4_S7_S7_d21rocsparse_index_base_imNS_24const_host_device_scalarIfEENS9_IdEENS9_IS5_EEb: ; @_ZN9rocsparseL12csrilu0_hashILj256ELj32ELj4E21rocsparse_complex_numIfEEEviPKiS4_PT2_S4_PiS4_S7_S7_d21rocsparse_index_base_imNS_24const_host_device_scalarIfEENS9_IdEENS9_IS5_EEb
; %bb.0:
	s_clause 0x2
	s_load_dword s0, s[4:5], 0x78
	s_load_dwordx2 s[2:3], s[4:5], 0x50
	s_load_dwordx8 s[24:31], s[4:5], 0x58
	s_waitcnt lgkmcnt(0)
	s_bitcmp1_b32 s0, 0
	s_cselect_b32 s7, -1, 0
	s_cmp_eq_u32 s3, 0
	s_cselect_b32 s9, -1, 0
	s_cmp_lg_u32 s3, 0
	s_cselect_b32 s3, -1, 0
	s_or_b32 s10, s9, s7
	s_xor_b32 s8, s10, -1
	s_and_b32 s0, s9, exec_lo
	s_cselect_b32 s1, 0, s29
	s_cselect_b32 s0, 0, s28
	s_and_b32 vcc_lo, exec_lo, s10
	s_cbranch_vccnz .LBB29_2
; %bb.1:
	s_load_dword s0, s[26:27], 0x0
	s_waitcnt lgkmcnt(0)
	v_mov_b32_e32 v17, s0
	s_mov_b64 s[0:1], s[28:29]
	v_mov_b32_e32 v4, s1
	v_mov_b32_e32 v3, s0
	s_andn2_b32 vcc_lo, exec_lo, s8
	s_cbranch_vccz .LBB29_3
	s_branch .LBB29_4
.LBB29_2:
	v_cndmask_b32_e64 v17, s26, 0, s9
	v_mov_b32_e32 v4, s1
	v_mov_b32_e32 v3, s0
	s_andn2_b32 vcc_lo, exec_lo, s8
	s_cbranch_vccnz .LBB29_4
.LBB29_3:
	v_mov_b32_e32 v1, s28
	v_mov_b32_e32 v2, s29
	flat_load_dwordx2 v[3:4], v[1:2]
.LBB29_4:
	v_cndmask_b32_e64 v18, 0, 1, s3
	s_mov_b32 s1, 0
	s_andn2_b32 vcc_lo, exec_lo, s3
	s_mov_b32 s3, 0
	s_cbranch_vccnz .LBB29_10
; %bb.5:
	s_xor_b32 s0, s7, -1
	s_mov_b32 s1, s30
	v_cndmask_b32_e64 v1, 0, 1, s0
	s_andn2_b32 vcc_lo, exec_lo, s0
	s_cbranch_vccnz .LBB29_7
; %bb.6:
	s_load_dword s1, s[30:31], 0x0
.LBB29_7:
	v_cmp_ne_u32_e32 vcc_lo, 1, v1
	s_cbranch_vccnz .LBB29_9
; %bb.8:
	s_load_dword s31, s[30:31], 0x4
.LBB29_9:
	s_waitcnt lgkmcnt(0)
	s_mov_b32 s3, s31
.LBB29_10:
	v_lshrrev_b32_e32 v1, 5, v0
	v_and_b32_e32 v16, 31, v0
	s_mov_b32 s0, 0
	v_lshlrev_b32_e32 v5, 9, v1
	v_lshlrev_b32_e32 v6, 2, v16
	v_or_b32_e32 v2, 0xffffffe0, v16
	v_or3_b32 v5, v5, v6, 0x1000
	v_mov_b32_e32 v6, -1
.LBB29_11:                              ; =>This Inner Loop Header: Depth=1
	v_add_nc_u32_e32 v2, 32, v2
	ds_write_b32 v5, v6
	v_add_nc_u32_e32 v5, 0x80, v5
	v_cmp_lt_u32_e32 vcc_lo, 0x5f, v2
	s_or_b32 s0, vcc_lo, s0
	s_andn2_b32 exec_lo, exec_lo, s0
	s_cbranch_execnz .LBB29_11
; %bb.12:
	s_or_b32 exec_lo, exec_lo, s0
	s_load_dword s0, s[4:5], 0x0
	s_lshl_b32 s6, s6, 3
	s_waitcnt vmcnt(0) lgkmcnt(0)
	buffer_gl0_inv
	v_and_or_b32 v1, 0x7fffff8, s6, v1
	v_cmp_gt_i32_e32 vcc_lo, s0, v1
	s_and_saveexec_b32 s0, vcc_lo
	s_cbranch_execz .LBB29_90
; %bb.13:
	s_load_dwordx16 s[8:23], s[4:5], 0x8
	v_lshlrev_b32_e32 v1, 2, v1
	v_lshlrev_b32_e32 v0, 4, v0
	s_mov_b32 s0, exec_lo
	v_and_b32_e32 v0, 0xe00, v0
	v_or_b32_e32 v19, 0x1000, v0
	s_waitcnt lgkmcnt(0)
	global_load_dword v5, v1, s[18:19]
	s_waitcnt vmcnt(0)
	v_ashrrev_i32_e32 v6, 31, v5
	v_lshlrev_b64 v[1:2], 2, v[5:6]
	v_add_co_u32 v6, vcc_lo, s8, v1
	v_add_co_ci_u32_e64 v7, null, s9, v2, vcc_lo
	v_add_co_u32 v9, vcc_lo, s14, v1
	v_add_co_ci_u32_e64 v10, null, s15, v2, vcc_lo
	global_load_dwordx2 v[7:8], v[6:7], off
	global_load_dword v6, v[9:10], off
	s_waitcnt vmcnt(1)
	v_subrev_nc_u32_e32 v7, s2, v7
	v_subrev_nc_u32_e32 v10, s2, v8
	v_add_nc_u32_e32 v8, v7, v16
	v_cmpx_lt_i32_e64 v8, v10
	s_cbranch_execz .LBB29_36
; %bb.14:
	v_mov_b32_e32 v11, -1
	s_mov_b32 s6, 0
	s_branch .LBB29_16
.LBB29_15:                              ;   in Loop: Header=BB29_16 Depth=1
	s_or_b32 exec_lo, exec_lo, s7
	v_add_nc_u32_e32 v8, 32, v8
	v_cmp_ge_i32_e32 vcc_lo, v8, v10
	s_or_b32 s6, vcc_lo, s6
	s_andn2_b32 exec_lo, exec_lo, s6
	s_cbranch_execz .LBB29_36
.LBB29_16:                              ; =>This Loop Header: Depth=1
                                        ;     Child Loop BB29_25 Depth 2
	v_ashrrev_i32_e32 v9, 31, v8
	s_mov_b32 s7, 0
                                        ; implicit-def: $sgpr18
                                        ; implicit-def: $sgpr19
                                        ; implicit-def: $sgpr26
	v_lshlrev_b64 v[12:13], 2, v[8:9]
	v_add_co_u32 v12, vcc_lo, s10, v12
	v_add_co_ci_u32_e64 v13, null, s11, v13, vcc_lo
	global_load_dword v9, v[12:13], off
	v_mov_b32_e32 v12, 0x80
	s_waitcnt vmcnt(0)
	v_mul_lo_u32 v14, 0x67, v9
	s_branch .LBB29_25
.LBB29_17:                              ;   in Loop: Header=BB29_25 Depth=2
	s_or_b32 exec_lo, exec_lo, s37
	s_orn2_b32 s35, s35, exec_lo
	s_orn2_b32 s36, s36, exec_lo
.LBB29_18:                              ;   in Loop: Header=BB29_25 Depth=2
	s_or_b32 exec_lo, exec_lo, s34
	s_and_b32 s35, s35, exec_lo
	s_orn2_b32 s34, s36, exec_lo
.LBB29_19:                              ;   in Loop: Header=BB29_25 Depth=2
	s_or_b32 exec_lo, exec_lo, s33
	s_orn2_b32 s33, s35, exec_lo
	s_orn2_b32 s34, s34, exec_lo
.LBB29_20:                              ;   in Loop: Header=BB29_25 Depth=2
	s_or_b32 exec_lo, exec_lo, s31
	s_and_b32 s33, s33, exec_lo
	s_orn2_b32 s31, s34, exec_lo
.LBB29_21:                              ;   in Loop: Header=BB29_25 Depth=2
	s_or_b32 exec_lo, exec_lo, s30
	s_orn2_b32 s30, s33, exec_lo
	s_orn2_b32 s31, s31, exec_lo
.LBB29_22:                              ;   in Loop: Header=BB29_25 Depth=2
	s_or_b32 exec_lo, exec_lo, s29
	s_and_b32 s30, s30, exec_lo
	s_orn2_b32 s29, s31, exec_lo
.LBB29_23:                              ;   in Loop: Header=BB29_25 Depth=2
	s_or_b32 exec_lo, exec_lo, s28
	s_andn2_b32 s26, s26, exec_lo
	s_and_b32 s28, s30, exec_lo
	s_andn2_b32 s19, s19, exec_lo
	s_and_b32 s29, s29, exec_lo
	s_or_b32 s26, s26, s28
	s_or_b32 s19, s19, s29
.LBB29_24:                              ;   in Loop: Header=BB29_25 Depth=2
	s_or_b32 exec_lo, exec_lo, s27
	s_and_b32 s27, exec_lo, s19
	s_or_b32 s7, s27, s7
	s_andn2_b32 s18, s18, exec_lo
	s_and_b32 s27, s26, exec_lo
	s_or_b32 s18, s18, s27
	s_andn2_b32 exec_lo, exec_lo, s7
	s_cbranch_execz .LBB29_34
.LBB29_25:                              ;   Parent Loop BB29_16 Depth=1
                                        ; =>  This Inner Loop Header: Depth=2
	v_and_b32_e32 v13, 0x7f, v14
	s_or_b32 s26, s26, exec_lo
	s_or_b32 s19, s19, exec_lo
	s_mov_b32 s27, exec_lo
	v_lshl_add_u32 v15, v13, 2, v19
	ds_read_b32 v20, v15
	s_waitcnt lgkmcnt(0)
	v_cmpx_ne_u32_e64 v20, v9
	s_cbranch_execz .LBB29_24
; %bb.26:                               ;   in Loop: Header=BB29_25 Depth=2
	ds_cmpst_rtn_b32 v15, v15, v11, v9
	s_mov_b32 s29, -1
	s_mov_b32 s30, 0
	s_mov_b32 s28, exec_lo
	s_waitcnt lgkmcnt(0)
	v_cmpx_ne_u32_e32 -1, v15
	s_cbranch_execz .LBB29_23
; %bb.27:                               ;   in Loop: Header=BB29_25 Depth=2
	v_add_nc_u32_e32 v13, 1, v14
	s_mov_b32 s31, -1
	s_mov_b32 s30, -1
	s_mov_b32 s29, exec_lo
	v_and_b32_e32 v13, 0x7f, v13
	v_lshl_add_u32 v15, v13, 2, v19
	ds_read_b32 v20, v15
	s_waitcnt lgkmcnt(0)
	v_cmpx_ne_u32_e64 v20, v9
	s_cbranch_execz .LBB29_22
; %bb.28:                               ;   in Loop: Header=BB29_25 Depth=2
	ds_cmpst_rtn_b32 v15, v15, v11, v9
	s_mov_b32 s33, 0
	s_mov_b32 s30, exec_lo
	s_waitcnt lgkmcnt(0)
	v_cmpx_ne_u32_e32 -1, v15
	s_cbranch_execz .LBB29_21
; %bb.29:                               ;   in Loop: Header=BB29_25 Depth=2
	v_add_nc_u32_e32 v13, 2, v14
	s_mov_b32 s34, -1
	s_mov_b32 s33, -1
	s_mov_b32 s31, exec_lo
	v_and_b32_e32 v13, 0x7f, v13
	v_lshl_add_u32 v15, v13, 2, v19
	ds_read_b32 v20, v15
	s_waitcnt lgkmcnt(0)
	v_cmpx_ne_u32_e64 v20, v9
	s_cbranch_execz .LBB29_20
; %bb.30:                               ;   in Loop: Header=BB29_25 Depth=2
	ds_cmpst_rtn_b32 v15, v15, v11, v9
	s_mov_b32 s35, 0
	s_mov_b32 s33, exec_lo
	s_waitcnt lgkmcnt(0)
	v_cmpx_ne_u32_e32 -1, v15
	s_cbranch_execz .LBB29_19
; %bb.31:                               ;   in Loop: Header=BB29_25 Depth=2
	v_add_nc_u32_e32 v13, 3, v14
	s_mov_b32 s36, -1
	s_mov_b32 s35, -1
	v_and_b32_e32 v13, 0x7f, v13
	v_lshl_add_u32 v15, v13, 2, v19
	ds_read_b32 v14, v15
	s_waitcnt lgkmcnt(0)
	v_cmp_ne_u32_e32 vcc_lo, v14, v9
                                        ; implicit-def: $vgpr14
	s_and_saveexec_b32 s34, vcc_lo
	s_cbranch_execz .LBB29_18
; %bb.32:                               ;   in Loop: Header=BB29_25 Depth=2
	ds_cmpst_rtn_b32 v14, v15, v11, v9
	s_mov_b32 s35, 0
	s_waitcnt lgkmcnt(0)
	v_cmp_ne_u32_e32 vcc_lo, -1, v14
                                        ; implicit-def: $vgpr14
	s_and_saveexec_b32 s37, vcc_lo
	s_cbranch_execz .LBB29_17
; %bb.33:                               ;   in Loop: Header=BB29_25 Depth=2
	v_add_nc_u32_e32 v12, -4, v12
	v_add_nc_u32_e32 v14, 1, v13
	s_mov_b32 s35, exec_lo
	v_cmp_eq_u32_e32 vcc_lo, 0, v12
	s_orn2_b32 s36, vcc_lo, exec_lo
	s_branch .LBB29_17
.LBB29_34:                              ;   in Loop: Header=BB29_16 Depth=1
	s_or_b32 exec_lo, exec_lo, s7
	s_xor_b32 s7, s18, -1
	s_and_saveexec_b32 s18, s7
	s_xor_b32 s7, exec_lo, s18
	s_cbranch_execz .LBB29_15
; %bb.35:                               ;   in Loop: Header=BB29_16 Depth=1
	v_lshl_add_u32 v9, v13, 2, v0
	ds_write_b32 v9, v8
	s_branch .LBB29_15
.LBB29_36:
	s_or_b32 exec_lo, exec_lo, s0
	s_mov_b32 s6, exec_lo
	s_waitcnt vmcnt(0) lgkmcnt(0)
	buffer_gl0_inv
	v_cmpx_lt_i32_e64 v7, v6
	s_cbranch_execz .LBB29_66
; %bb.37:
	v_add_nc_u32_e32 v20, 1, v16
	s_mov_b32 s7, 0
	s_branch .LBB29_40
.LBB29_38:                              ;   in Loop: Header=BB29_40 Depth=1
	s_or_b32 exec_lo, exec_lo, s18
	v_add_nc_u32_e32 v7, 1, v7
	v_cmp_ge_i32_e32 vcc_lo, v7, v6
	s_orn2_b32 s18, vcc_lo, exec_lo
.LBB29_39:                              ;   in Loop: Header=BB29_40 Depth=1
	s_or_b32 exec_lo, exec_lo, s0
	s_and_b32 s0, exec_lo, s18
	s_or_b32 s7, s0, s7
	s_andn2_b32 exec_lo, exec_lo, s7
	s_cbranch_execz .LBB29_66
.LBB29_40:                              ; =>This Loop Header: Depth=1
                                        ;     Child Loop BB29_41 Depth 2
                                        ;     Child Loop BB29_46 Depth 2
                                        ;       Child Loop BB29_55 Depth 3
	v_ashrrev_i32_e32 v8, 31, v7
	s_mov_b32 s0, 0
	v_lshlrev_b64 v[9:10], 2, v[7:8]
	v_lshlrev_b64 v[12:13], 3, v[7:8]
	v_add_co_u32 v9, vcc_lo, s10, v9
	v_add_co_ci_u32_e64 v10, null, s11, v10, vcc_lo
	v_add_co_u32 v12, vcc_lo, s12, v12
	v_add_co_ci_u32_e64 v13, null, s13, v13, vcc_lo
	global_load_dword v9, v[9:10], off
	s_waitcnt vmcnt(0)
	v_subrev_nc_u32_e32 v9, s2, v9
	v_ashrrev_i32_e32 v10, 31, v9
	v_lshlrev_b64 v[10:11], 2, v[9:10]
	v_add_co_u32 v14, vcc_lo, s8, v10
	v_add_co_ci_u32_e64 v15, null, s9, v11, vcc_lo
	v_add_co_u32 v21, vcc_lo, s14, v10
	v_add_co_ci_u32_e64 v22, null, s15, v11, vcc_lo
	global_load_dwordx2 v[8:9], v[12:13], off
	global_load_dword v14, v[14:15], off offset:4
	global_load_dword v15, v[21:22], off
	v_add_co_u32 v10, vcc_lo, s16, v10
	v_add_co_ci_u32_e64 v11, null, s17, v11, vcc_lo
.LBB29_41:                              ;   Parent Loop BB29_40 Depth=1
                                        ; =>  This Inner Loop Header: Depth=2
	global_load_dword v21, v[10:11], off glc dlc
	s_waitcnt vmcnt(0)
	v_cmp_ne_u32_e32 vcc_lo, 0, v21
	s_or_b32 s0, vcc_lo, s0
	s_andn2_b32 exec_lo, exec_lo, s0
	s_cbranch_execnz .LBB29_41
; %bb.42:                               ;   in Loop: Header=BB29_40 Depth=1
	s_or_b32 exec_lo, exec_lo, s0
	v_subrev_nc_u32_e32 v21, s2, v14
	v_cmp_eq_u32_e32 vcc_lo, -1, v15
	buffer_gl1_inv
	buffer_gl0_inv
	s_mov_b32 s18, -1
	v_add_nc_u32_e32 v10, -1, v21
	v_cndmask_b32_e32 v10, v15, v10, vcc_lo
	v_ashrrev_i32_e32 v11, 31, v10
	v_lshlrev_b64 v[14:15], 3, v[10:11]
	v_add_co_u32 v14, vcc_lo, s12, v14
	v_add_co_ci_u32_e64 v15, null, s13, v15, vcc_lo
	global_load_dwordx2 v[14:15], v[14:15], off
	s_waitcnt vmcnt(0)
	v_cmp_neq_f32_e32 vcc_lo, 0, v14
	v_cmp_neq_f32_e64 s0, 0, v15
	s_or_b32 s19, vcc_lo, s0
	s_and_saveexec_b32 s0, s19
	s_cbranch_execz .LBB29_39
; %bb.43:                               ;   in Loop: Header=BB29_40 Depth=1
	v_mul_f32_e32 v11, v15, v15
	s_mov_b32 s18, exec_lo
	v_fmac_f32_e32 v11, v14, v14
	v_div_scale_f32 v22, null, v11, v11, 1.0
	v_div_scale_f32 v25, vcc_lo, 1.0, v11, 1.0
	v_rcp_f32_e32 v23, v22
	v_fma_f32 v24, -v22, v23, 1.0
	v_fmac_f32_e32 v23, v24, v23
	v_mul_f32_e32 v24, v25, v23
	v_fma_f32 v26, -v22, v24, v25
	v_fmac_f32_e32 v24, v26, v23
	v_fma_f32 v22, -v22, v24, v25
	v_mul_f32_e32 v25, v9, v15
	v_mul_f32_e64 v15, v15, -v8
	v_div_fmas_f32 v22, v22, v23, v24
	v_fmac_f32_e32 v25, v8, v14
	v_fmac_f32_e32 v15, v9, v14
	v_add_nc_u32_e32 v8, v20, v10
	v_div_fixup_f32 v11, v22, v11, 1.0
	v_mul_f32_e32 v10, v25, v11
	v_mul_f32_e32 v11, v15, v11
	global_store_dwordx2 v[12:13], v[10:11], off
	v_cmpx_lt_i32_e64 v8, v21
	s_cbranch_execz .LBB29_38
; %bb.44:                               ;   in Loop: Header=BB29_40 Depth=1
	s_mov_b32 s19, 0
	s_branch .LBB29_46
.LBB29_45:                              ;   in Loop: Header=BB29_46 Depth=2
	s_or_b32 exec_lo, exec_lo, s26
	v_add_nc_u32_e32 v8, 32, v8
	v_cmp_ge_i32_e32 vcc_lo, v8, v21
	s_or_b32 s19, vcc_lo, s19
	s_andn2_b32 exec_lo, exec_lo, s19
	s_cbranch_execz .LBB29_38
.LBB29_46:                              ;   Parent Loop BB29_40 Depth=1
                                        ; =>  This Loop Header: Depth=2
                                        ;       Child Loop BB29_55 Depth 3
	v_ashrrev_i32_e32 v9, 31, v8
	s_mov_b32 s26, 0
                                        ; implicit-def: $sgpr27
                                        ; implicit-def: $sgpr28
                                        ; implicit-def: $sgpr29
	v_lshlrev_b64 v[12:13], 2, v[8:9]
	v_add_co_u32 v12, vcc_lo, s10, v12
	v_add_co_ci_u32_e64 v13, null, s11, v13, vcc_lo
	global_load_dword v12, v[12:13], off
	v_mov_b32_e32 v13, 0x80
	s_waitcnt vmcnt(0)
	v_mul_lo_u32 v15, 0x67, v12
	s_branch .LBB29_55
.LBB29_47:                              ;   in Loop: Header=BB29_55 Depth=3
	s_or_b32 exec_lo, exec_lo, s40
	s_orn2_b32 s38, s38, exec_lo
	s_orn2_b32 s39, s39, exec_lo
.LBB29_48:                              ;   in Loop: Header=BB29_55 Depth=3
	s_or_b32 exec_lo, exec_lo, s37
	s_and_b32 s38, s38, exec_lo
	s_orn2_b32 s37, s39, exec_lo
.LBB29_49:                              ;   in Loop: Header=BB29_55 Depth=3
	s_or_b32 exec_lo, exec_lo, s36
	s_orn2_b32 s36, s38, exec_lo
	s_orn2_b32 s37, s37, exec_lo
.LBB29_50:                              ;   in Loop: Header=BB29_55 Depth=3
	s_or_b32 exec_lo, exec_lo, s35
	s_and_b32 s36, s36, exec_lo
	s_orn2_b32 s35, s37, exec_lo
.LBB29_51:                              ;   in Loop: Header=BB29_55 Depth=3
	s_or_b32 exec_lo, exec_lo, s34
	s_orn2_b32 s34, s36, exec_lo
	s_orn2_b32 s35, s35, exec_lo
.LBB29_52:                              ;   in Loop: Header=BB29_55 Depth=3
	s_or_b32 exec_lo, exec_lo, s33
	s_and_b32 s34, s34, exec_lo
	s_orn2_b32 s33, s35, exec_lo
.LBB29_53:                              ;   in Loop: Header=BB29_55 Depth=3
	s_or_b32 exec_lo, exec_lo, s31
	s_andn2_b32 s29, s29, exec_lo
	s_and_b32 s31, s34, exec_lo
	s_andn2_b32 s28, s28, exec_lo
	s_and_b32 s33, s33, exec_lo
	s_or_b32 s29, s29, s31
	s_or_b32 s28, s28, s33
.LBB29_54:                              ;   in Loop: Header=BB29_55 Depth=3
	s_or_b32 exec_lo, exec_lo, s30
	s_and_b32 s30, exec_lo, s28
	s_or_b32 s26, s30, s26
	s_andn2_b32 s27, s27, exec_lo
	s_and_b32 s30, s29, exec_lo
	s_or_b32 s27, s27, s30
	s_andn2_b32 exec_lo, exec_lo, s26
	s_cbranch_execz .LBB29_64
.LBB29_55:                              ;   Parent Loop BB29_40 Depth=1
                                        ;     Parent Loop BB29_46 Depth=2
                                        ; =>    This Inner Loop Header: Depth=3
	v_and_b32_e32 v14, 0x7f, v15
	s_or_b32 s29, s29, exec_lo
	s_or_b32 s28, s28, exec_lo
	s_mov_b32 s30, exec_lo
	v_lshl_add_u32 v22, v14, 2, v19
	ds_read_b32 v22, v22
	s_waitcnt lgkmcnt(0)
	v_cmpx_ne_u32_e32 -1, v22
	s_cbranch_execz .LBB29_54
; %bb.56:                               ;   in Loop: Header=BB29_55 Depth=3
	s_mov_b32 s33, -1
	s_mov_b32 s34, 0
	s_mov_b32 s31, exec_lo
	v_cmpx_ne_u32_e64 v22, v12
	s_cbranch_execz .LBB29_53
; %bb.57:                               ;   in Loop: Header=BB29_55 Depth=3
	v_add_nc_u32_e32 v14, 1, v15
	s_mov_b32 s35, -1
	s_mov_b32 s34, -1
	s_mov_b32 s33, exec_lo
	v_and_b32_e32 v14, 0x7f, v14
	v_lshl_add_u32 v22, v14, 2, v19
	ds_read_b32 v22, v22
	s_waitcnt lgkmcnt(0)
	v_cmpx_ne_u32_e32 -1, v22
	s_cbranch_execz .LBB29_52
; %bb.58:                               ;   in Loop: Header=BB29_55 Depth=3
	s_mov_b32 s36, 0
	s_mov_b32 s34, exec_lo
	v_cmpx_ne_u32_e64 v22, v12
	s_cbranch_execz .LBB29_51
; %bb.59:                               ;   in Loop: Header=BB29_55 Depth=3
	v_add_nc_u32_e32 v14, 2, v15
	s_mov_b32 s37, -1
	s_mov_b32 s36, -1
	s_mov_b32 s35, exec_lo
	v_and_b32_e32 v14, 0x7f, v14
	v_lshl_add_u32 v22, v14, 2, v19
	ds_read_b32 v22, v22
	s_waitcnt lgkmcnt(0)
	v_cmpx_ne_u32_e32 -1, v22
	s_cbranch_execz .LBB29_50
; %bb.60:                               ;   in Loop: Header=BB29_55 Depth=3
	s_mov_b32 s38, 0
	s_mov_b32 s36, exec_lo
	v_cmpx_ne_u32_e64 v22, v12
	s_cbranch_execz .LBB29_49
; %bb.61:                               ;   in Loop: Header=BB29_55 Depth=3
	v_add_nc_u32_e32 v14, 3, v15
	s_mov_b32 s39, -1
	s_mov_b32 s38, -1
	s_mov_b32 s37, exec_lo
	v_and_b32_e32 v14, 0x7f, v14
	v_lshl_add_u32 v15, v14, 2, v19
	ds_read_b32 v22, v15
                                        ; implicit-def: $vgpr15
	s_waitcnt lgkmcnt(0)
	v_cmpx_ne_u32_e32 -1, v22
	s_cbranch_execz .LBB29_48
; %bb.62:                               ;   in Loop: Header=BB29_55 Depth=3
	s_mov_b32 s38, 0
	s_mov_b32 s40, exec_lo
                                        ; implicit-def: $vgpr15
	v_cmpx_ne_u32_e64 v22, v12
	s_cbranch_execz .LBB29_47
; %bb.63:                               ;   in Loop: Header=BB29_55 Depth=3
	v_add_nc_u32_e32 v13, -4, v13
	v_add_nc_u32_e32 v15, 1, v14
	s_mov_b32 s38, exec_lo
	v_cmp_eq_u32_e32 vcc_lo, 0, v13
	s_orn2_b32 s39, vcc_lo, exec_lo
	s_branch .LBB29_47
.LBB29_64:                              ;   in Loop: Header=BB29_46 Depth=2
	s_or_b32 exec_lo, exec_lo, s26
	s_xor_b32 s26, s27, -1
	s_and_saveexec_b32 s27, s26
	s_xor_b32 s26, exec_lo, s27
	s_cbranch_execz .LBB29_45
; %bb.65:                               ;   in Loop: Header=BB29_46 Depth=2
	v_lshl_add_u32 v12, v14, 2, v0
	v_lshlrev_b64 v[14:15], 3, v[8:9]
	ds_read_b32 v12, v12
	v_add_co_u32 v14, vcc_lo, s12, v14
	v_add_co_ci_u32_e64 v15, null, s13, v15, vcc_lo
	s_waitcnt lgkmcnt(0)
	v_ashrrev_i32_e32 v13, 31, v12
	v_lshlrev_b64 v[12:13], 3, v[12:13]
	v_add_co_u32 v12, vcc_lo, s12, v12
	v_add_co_ci_u32_e64 v13, null, s13, v13, vcc_lo
	s_clause 0x1
	global_load_dwordx2 v[14:15], v[14:15], off
	global_load_dwordx2 v[22:23], v[12:13], off
	s_waitcnt vmcnt(0)
	v_fma_f32 v22, -v10, v14, v22
	v_fma_f32 v9, -v11, v14, v23
	v_fmac_f32_e32 v22, v11, v15
	v_fma_f32 v23, -v10, v15, v9
	global_store_dwordx2 v[12:13], v[22:23], off
	s_branch .LBB29_45
.LBB29_66:
	s_or_b32 exec_lo, exec_lo, s6
	s_mov_b32 s6, exec_lo
	s_waitcnt_vscnt null, 0x0
	buffer_gl0_inv
	v_cmpx_lt_i32_e32 -1, v6
	s_cbranch_execz .LBB29_88
; %bb.67:
	v_mov_b32_e32 v7, 0
	s_mov_b32 s0, exec_lo
	v_lshlrev_b64 v[8:9], 3, v[6:7]
	v_add_co_u32 v10, vcc_lo, s12, v8
	v_add_co_ci_u32_e64 v11, null, s13, v9, vcc_lo
	global_load_dwordx2 v[8:9], v[10:11], off
	s_waitcnt vmcnt(0)
	v_cmp_gt_f32_e32 vcc_lo, 0, v8
	v_cndmask_b32_e64 v0, v8, -v8, vcc_lo
	v_cmp_gt_f32_e32 vcc_lo, 0, v9
	v_cndmask_b32_e64 v6, v9, -v9, vcc_lo
	v_cmpx_ngt_f32_e32 v0, v6
	s_xor_b32 s7, exec_lo, s0
	s_cbranch_execz .LBB29_71
; %bb.68:
	s_mov_b32 s8, exec_lo
	v_cmpx_neq_f32_e32 0, v9
	s_cbranch_execz .LBB29_70
; %bb.69:
	v_div_scale_f32 v7, null, v6, v6, v0
	v_div_scale_f32 v14, vcc_lo, v0, v6, v0
	v_rcp_f32_e32 v12, v7
	v_fma_f32 v13, -v7, v12, 1.0
	v_fmac_f32_e32 v12, v13, v12
	v_mul_f32_e32 v13, v14, v12
	v_fma_f32 v15, -v7, v13, v14
	v_fmac_f32_e32 v13, v15, v12
	v_fma_f32 v7, -v7, v13, v14
	v_div_fmas_f32 v7, v7, v12, v13
	v_div_fixup_f32 v0, v7, v6, v0
	v_fma_f32 v0, v0, v0, 1.0
	v_mul_f32_e32 v7, 0x4f800000, v0
	v_cmp_gt_f32_e32 vcc_lo, 0xf800000, v0
	v_cndmask_b32_e32 v0, v0, v7, vcc_lo
	v_sqrt_f32_e32 v7, v0
	v_add_nc_u32_e32 v12, -1, v7
	v_add_nc_u32_e32 v13, 1, v7
	v_fma_f32 v14, -v12, v7, v0
	v_fma_f32 v15, -v13, v7, v0
	v_cmp_ge_f32_e64 s0, 0, v14
	v_cndmask_b32_e64 v7, v7, v12, s0
	v_cmp_lt_f32_e64 s0, 0, v15
	v_cndmask_b32_e64 v7, v7, v13, s0
	v_mul_f32_e32 v12, 0x37800000, v7
	v_cndmask_b32_e32 v7, v7, v12, vcc_lo
	v_cmp_class_f32_e64 vcc_lo, v0, 0x260
	v_cndmask_b32_e32 v0, v7, v0, vcc_lo
	v_mul_f32_e32 v7, v6, v0
.LBB29_70:
	s_or_b32 exec_lo, exec_lo, s8
                                        ; implicit-def: $vgpr0
                                        ; implicit-def: $vgpr6
.LBB29_71:
	s_andn2_saveexec_b32 s7, s7
	s_cbranch_execz .LBB29_73
; %bb.72:
	v_div_scale_f32 v7, null, v0, v0, v6
	v_div_scale_f32 v14, vcc_lo, v6, v0, v6
	v_rcp_f32_e32 v12, v7
	v_fma_f32 v13, -v7, v12, 1.0
	v_fmac_f32_e32 v12, v13, v12
	v_mul_f32_e32 v13, v14, v12
	v_fma_f32 v15, -v7, v13, v14
	v_fmac_f32_e32 v13, v15, v12
	v_fma_f32 v7, -v7, v13, v14
	v_div_fmas_f32 v7, v7, v12, v13
	v_div_fixup_f32 v6, v7, v0, v6
	v_fma_f32 v6, v6, v6, 1.0
	v_mul_f32_e32 v7, 0x4f800000, v6
	v_cmp_gt_f32_e32 vcc_lo, 0xf800000, v6
	v_cndmask_b32_e32 v6, v6, v7, vcc_lo
	v_sqrt_f32_e32 v7, v6
	v_add_nc_u32_e32 v12, -1, v7
	v_add_nc_u32_e32 v13, 1, v7
	v_fma_f32 v14, -v12, v7, v6
	v_fma_f32 v15, -v13, v7, v6
	v_cmp_ge_f32_e64 s0, 0, v14
	v_cndmask_b32_e64 v7, v7, v12, s0
	v_cmp_lt_f32_e64 s0, 0, v15
	v_cndmask_b32_e64 v7, v7, v13, s0
	v_mul_f32_e32 v12, 0x37800000, v7
	v_cndmask_b32_e32 v7, v7, v12, vcc_lo
	v_cmp_class_f32_e64 vcc_lo, v6, 0x260
	v_cndmask_b32_e32 v6, v7, v6, vcc_lo
	v_mul_f32_e32 v7, v0, v6
.LBB29_73:
	s_or_b32 exec_lo, exec_lo, s7
	v_cvt_f64_f32_e32 v[6:7], v7
	v_cmp_ne_u32_e32 vcc_lo, 1, v18
	v_cmp_eq_u32_e64 s0, 0, v16
	s_mov_b32 s7, -1
	s_cbranch_vccnz .LBB29_77
; %bb.74:
	v_cvt_f64_f32_e32 v[12:13], v17
	s_cmp_eq_u64 s[24:25], 8
	s_cselect_b32 vcc_lo, -1, 0
	v_cndmask_b32_e32 v4, v13, v4, vcc_lo
	v_cndmask_b32_e32 v3, v12, v3, vcc_lo
	v_cmp_ge_f64_e32 vcc_lo, v[3:4], v[6:7]
	s_and_b32 s8, s0, vcc_lo
	s_and_saveexec_b32 s7, s8
	s_cbranch_execz .LBB29_76
; %bb.75:
	v_mov_b32_e32 v3, s1
	v_mov_b32_e32 v4, s3
	global_store_dwordx2 v[10:11], v[3:4], off
	s_waitcnt_vscnt null, 0x0
	buffer_gl1_inv
	buffer_gl0_inv
.LBB29_76:
	s_or_b32 exec_lo, exec_lo, s7
	s_mov_b32 s7, 0
.LBB29_77:
	s_andn2_b32 vcc_lo, exec_lo, s7
	s_cbranch_vccnz .LBB29_88
; %bb.78:
	s_load_dwordx2 s[4:5], s[4:5], 0x48
	v_add_nc_u32_e32 v0, s2, v5
	s_waitcnt lgkmcnt(0)
	v_cmp_ge_f64_e32 vcc_lo, s[4:5], v[6:7]
	s_and_b32 s2, s0, vcc_lo
	s_and_saveexec_b32 s1, s2
	s_cbranch_execz .LBB29_83
; %bb.79:
	s_mov_b32 s3, exec_lo
	s_brev_b32 s2, -2
.LBB29_80:                              ; =>This Inner Loop Header: Depth=1
	s_ff1_i32_b32 s4, s3
	v_readlane_b32 s5, v0, s4
	s_lshl_b32 s4, 1, s4
	s_andn2_b32 s3, s3, s4
	s_min_i32 s2, s2, s5
	s_cmp_lg_u32 s3, 0
	s_cbranch_scc1 .LBB29_80
; %bb.81:
	v_mbcnt_lo_u32_b32 v3, exec_lo, 0
	s_mov_b32 s3, exec_lo
	v_cmpx_eq_u32_e32 0, v3
	s_xor_b32 s3, exec_lo, s3
	s_cbranch_execz .LBB29_83
; %bb.82:
	v_mov_b32_e32 v3, 0
	v_mov_b32_e32 v4, s2
	global_atomic_smin v3, v4, s[22:23]
.LBB29_83:
	s_or_b32 exec_lo, exec_lo, s1
	v_cmp_eq_f32_e32 vcc_lo, 0, v8
	v_cmp_eq_f32_e64 s1, 0, v9
	s_and_b32 s1, vcc_lo, s1
	s_and_b32 s0, s0, s1
	s_and_b32 exec_lo, exec_lo, s0
	s_cbranch_execz .LBB29_88
; %bb.84:
	s_mov_b32 s1, exec_lo
	s_brev_b32 s0, -2
.LBB29_85:                              ; =>This Inner Loop Header: Depth=1
	s_ff1_i32_b32 s2, s1
	v_readlane_b32 s3, v0, s2
	s_lshl_b32 s2, 1, s2
	s_andn2_b32 s1, s1, s2
	s_min_i32 s0, s0, s3
	s_cmp_lg_u32 s1, 0
	s_cbranch_scc1 .LBB29_85
; %bb.86:
	v_mbcnt_lo_u32_b32 v0, exec_lo, 0
	s_mov_b32 s1, exec_lo
	v_cmpx_eq_u32_e32 0, v0
	s_xor_b32 s1, exec_lo, s1
	s_cbranch_execz .LBB29_88
; %bb.87:
	v_mov_b32_e32 v0, 0
	v_mov_b32_e32 v3, s0
	global_atomic_smin v0, v3, s[20:21]
.LBB29_88:
	s_or_b32 exec_lo, exec_lo, s6
	v_cmp_eq_u32_e32 vcc_lo, 0, v16
	s_waitcnt_vscnt null, 0x0
	buffer_gl1_inv
	buffer_gl0_inv
	s_and_b32 exec_lo, exec_lo, vcc_lo
	s_cbranch_execz .LBB29_90
; %bb.89:
	v_add_co_u32 v0, vcc_lo, s16, v1
	v_add_co_ci_u32_e64 v1, null, s17, v2, vcc_lo
	v_mov_b32_e32 v2, 1
	global_store_dword v[0:1], v2, off
.LBB29_90:
	s_endpgm
	.section	.rodata,"a",@progbits
	.p2align	6, 0x0
	.amdhsa_kernel _ZN9rocsparseL12csrilu0_hashILj256ELj32ELj4E21rocsparse_complex_numIfEEEviPKiS4_PT2_S4_PiS4_S7_S7_d21rocsparse_index_base_imNS_24const_host_device_scalarIfEENS9_IdEENS9_IS5_EEb
		.amdhsa_group_segment_fixed_size 8192
		.amdhsa_private_segment_fixed_size 0
		.amdhsa_kernarg_size 124
		.amdhsa_user_sgpr_count 6
		.amdhsa_user_sgpr_private_segment_buffer 1
		.amdhsa_user_sgpr_dispatch_ptr 0
		.amdhsa_user_sgpr_queue_ptr 0
		.amdhsa_user_sgpr_kernarg_segment_ptr 1
		.amdhsa_user_sgpr_dispatch_id 0
		.amdhsa_user_sgpr_flat_scratch_init 0
		.amdhsa_user_sgpr_private_segment_size 0
		.amdhsa_wavefront_size32 1
		.amdhsa_uses_dynamic_stack 0
		.amdhsa_system_sgpr_private_segment_wavefront_offset 0
		.amdhsa_system_sgpr_workgroup_id_x 1
		.amdhsa_system_sgpr_workgroup_id_y 0
		.amdhsa_system_sgpr_workgroup_id_z 0
		.amdhsa_system_sgpr_workgroup_info 0
		.amdhsa_system_vgpr_workitem_id 0
		.amdhsa_next_free_vgpr 27
		.amdhsa_next_free_sgpr 41
		.amdhsa_reserve_vcc 1
		.amdhsa_reserve_flat_scratch 0
		.amdhsa_float_round_mode_32 0
		.amdhsa_float_round_mode_16_64 0
		.amdhsa_float_denorm_mode_32 3
		.amdhsa_float_denorm_mode_16_64 3
		.amdhsa_dx10_clamp 1
		.amdhsa_ieee_mode 1
		.amdhsa_fp16_overflow 0
		.amdhsa_workgroup_processor_mode 1
		.amdhsa_memory_ordered 1
		.amdhsa_forward_progress 1
		.amdhsa_shared_vgpr_count 0
		.amdhsa_exception_fp_ieee_invalid_op 0
		.amdhsa_exception_fp_denorm_src 0
		.amdhsa_exception_fp_ieee_div_zero 0
		.amdhsa_exception_fp_ieee_overflow 0
		.amdhsa_exception_fp_ieee_underflow 0
		.amdhsa_exception_fp_ieee_inexact 0
		.amdhsa_exception_int_div_zero 0
	.end_amdhsa_kernel
	.section	.text._ZN9rocsparseL12csrilu0_hashILj256ELj32ELj4E21rocsparse_complex_numIfEEEviPKiS4_PT2_S4_PiS4_S7_S7_d21rocsparse_index_base_imNS_24const_host_device_scalarIfEENS9_IdEENS9_IS5_EEb,"axG",@progbits,_ZN9rocsparseL12csrilu0_hashILj256ELj32ELj4E21rocsparse_complex_numIfEEEviPKiS4_PT2_S4_PiS4_S7_S7_d21rocsparse_index_base_imNS_24const_host_device_scalarIfEENS9_IdEENS9_IS5_EEb,comdat
.Lfunc_end29:
	.size	_ZN9rocsparseL12csrilu0_hashILj256ELj32ELj4E21rocsparse_complex_numIfEEEviPKiS4_PT2_S4_PiS4_S7_S7_d21rocsparse_index_base_imNS_24const_host_device_scalarIfEENS9_IdEENS9_IS5_EEb, .Lfunc_end29-_ZN9rocsparseL12csrilu0_hashILj256ELj32ELj4E21rocsparse_complex_numIfEEEviPKiS4_PT2_S4_PiS4_S7_S7_d21rocsparse_index_base_imNS_24const_host_device_scalarIfEENS9_IdEENS9_IS5_EEb
                                        ; -- End function
	.set _ZN9rocsparseL12csrilu0_hashILj256ELj32ELj4E21rocsparse_complex_numIfEEEviPKiS4_PT2_S4_PiS4_S7_S7_d21rocsparse_index_base_imNS_24const_host_device_scalarIfEENS9_IdEENS9_IS5_EEb.num_vgpr, 27
	.set _ZN9rocsparseL12csrilu0_hashILj256ELj32ELj4E21rocsparse_complex_numIfEEEviPKiS4_PT2_S4_PiS4_S7_S7_d21rocsparse_index_base_imNS_24const_host_device_scalarIfEENS9_IdEENS9_IS5_EEb.num_agpr, 0
	.set _ZN9rocsparseL12csrilu0_hashILj256ELj32ELj4E21rocsparse_complex_numIfEEEviPKiS4_PT2_S4_PiS4_S7_S7_d21rocsparse_index_base_imNS_24const_host_device_scalarIfEENS9_IdEENS9_IS5_EEb.numbered_sgpr, 41
	.set _ZN9rocsparseL12csrilu0_hashILj256ELj32ELj4E21rocsparse_complex_numIfEEEviPKiS4_PT2_S4_PiS4_S7_S7_d21rocsparse_index_base_imNS_24const_host_device_scalarIfEENS9_IdEENS9_IS5_EEb.num_named_barrier, 0
	.set _ZN9rocsparseL12csrilu0_hashILj256ELj32ELj4E21rocsparse_complex_numIfEEEviPKiS4_PT2_S4_PiS4_S7_S7_d21rocsparse_index_base_imNS_24const_host_device_scalarIfEENS9_IdEENS9_IS5_EEb.private_seg_size, 0
	.set _ZN9rocsparseL12csrilu0_hashILj256ELj32ELj4E21rocsparse_complex_numIfEEEviPKiS4_PT2_S4_PiS4_S7_S7_d21rocsparse_index_base_imNS_24const_host_device_scalarIfEENS9_IdEENS9_IS5_EEb.uses_vcc, 1
	.set _ZN9rocsparseL12csrilu0_hashILj256ELj32ELj4E21rocsparse_complex_numIfEEEviPKiS4_PT2_S4_PiS4_S7_S7_d21rocsparse_index_base_imNS_24const_host_device_scalarIfEENS9_IdEENS9_IS5_EEb.uses_flat_scratch, 0
	.set _ZN9rocsparseL12csrilu0_hashILj256ELj32ELj4E21rocsparse_complex_numIfEEEviPKiS4_PT2_S4_PiS4_S7_S7_d21rocsparse_index_base_imNS_24const_host_device_scalarIfEENS9_IdEENS9_IS5_EEb.has_dyn_sized_stack, 0
	.set _ZN9rocsparseL12csrilu0_hashILj256ELj32ELj4E21rocsparse_complex_numIfEEEviPKiS4_PT2_S4_PiS4_S7_S7_d21rocsparse_index_base_imNS_24const_host_device_scalarIfEENS9_IdEENS9_IS5_EEb.has_recursion, 0
	.set _ZN9rocsparseL12csrilu0_hashILj256ELj32ELj4E21rocsparse_complex_numIfEEEviPKiS4_PT2_S4_PiS4_S7_S7_d21rocsparse_index_base_imNS_24const_host_device_scalarIfEENS9_IdEENS9_IS5_EEb.has_indirect_call, 0
	.section	.AMDGPU.csdata,"",@progbits
; Kernel info:
; codeLenInByte = 3280
; TotalNumSgprs: 43
; NumVgprs: 27
; ScratchSize: 0
; MemoryBound: 0
; FloatMode: 240
; IeeeMode: 1
; LDSByteSize: 8192 bytes/workgroup (compile time only)
; SGPRBlocks: 0
; VGPRBlocks: 3
; NumSGPRsForWavesPerEU: 43
; NumVGPRsForWavesPerEU: 27
; Occupancy: 16
; WaveLimiterHint : 1
; COMPUTE_PGM_RSRC2:SCRATCH_EN: 0
; COMPUTE_PGM_RSRC2:USER_SGPR: 6
; COMPUTE_PGM_RSRC2:TRAP_HANDLER: 0
; COMPUTE_PGM_RSRC2:TGID_X_EN: 1
; COMPUTE_PGM_RSRC2:TGID_Y_EN: 0
; COMPUTE_PGM_RSRC2:TGID_Z_EN: 0
; COMPUTE_PGM_RSRC2:TIDIG_COMP_CNT: 0
	.section	.text._ZN9rocsparseL12csrilu0_hashILj256ELj32ELj8E21rocsparse_complex_numIfEEEviPKiS4_PT2_S4_PiS4_S7_S7_d21rocsparse_index_base_imNS_24const_host_device_scalarIfEENS9_IdEENS9_IS5_EEb,"axG",@progbits,_ZN9rocsparseL12csrilu0_hashILj256ELj32ELj8E21rocsparse_complex_numIfEEEviPKiS4_PT2_S4_PiS4_S7_S7_d21rocsparse_index_base_imNS_24const_host_device_scalarIfEENS9_IdEENS9_IS5_EEb,comdat
	.globl	_ZN9rocsparseL12csrilu0_hashILj256ELj32ELj8E21rocsparse_complex_numIfEEEviPKiS4_PT2_S4_PiS4_S7_S7_d21rocsparse_index_base_imNS_24const_host_device_scalarIfEENS9_IdEENS9_IS5_EEb ; -- Begin function _ZN9rocsparseL12csrilu0_hashILj256ELj32ELj8E21rocsparse_complex_numIfEEEviPKiS4_PT2_S4_PiS4_S7_S7_d21rocsparse_index_base_imNS_24const_host_device_scalarIfEENS9_IdEENS9_IS5_EEb
	.p2align	8
	.type	_ZN9rocsparseL12csrilu0_hashILj256ELj32ELj8E21rocsparse_complex_numIfEEEviPKiS4_PT2_S4_PiS4_S7_S7_d21rocsparse_index_base_imNS_24const_host_device_scalarIfEENS9_IdEENS9_IS5_EEb,@function
_ZN9rocsparseL12csrilu0_hashILj256ELj32ELj8E21rocsparse_complex_numIfEEEviPKiS4_PT2_S4_PiS4_S7_S7_d21rocsparse_index_base_imNS_24const_host_device_scalarIfEENS9_IdEENS9_IS5_EEb: ; @_ZN9rocsparseL12csrilu0_hashILj256ELj32ELj8E21rocsparse_complex_numIfEEEviPKiS4_PT2_S4_PiS4_S7_S7_d21rocsparse_index_base_imNS_24const_host_device_scalarIfEENS9_IdEENS9_IS5_EEb
; %bb.0:
	s_clause 0x2
	s_load_dword s0, s[4:5], 0x78
	s_load_dwordx2 s[2:3], s[4:5], 0x50
	s_load_dwordx8 s[24:31], s[4:5], 0x58
	s_waitcnt lgkmcnt(0)
	s_bitcmp1_b32 s0, 0
	s_cselect_b32 s7, -1, 0
	s_cmp_eq_u32 s3, 0
	s_cselect_b32 s9, -1, 0
	s_cmp_lg_u32 s3, 0
	s_cselect_b32 s3, -1, 0
	s_or_b32 s10, s9, s7
	s_xor_b32 s8, s10, -1
	s_and_b32 s0, s9, exec_lo
	s_cselect_b32 s1, 0, s29
	s_cselect_b32 s0, 0, s28
	s_and_b32 vcc_lo, exec_lo, s10
	s_cbranch_vccnz .LBB30_2
; %bb.1:
	s_load_dword s0, s[26:27], 0x0
	s_waitcnt lgkmcnt(0)
	v_mov_b32_e32 v17, s0
	s_mov_b64 s[0:1], s[28:29]
	v_mov_b32_e32 v4, s1
	v_mov_b32_e32 v3, s0
	s_andn2_b32 vcc_lo, exec_lo, s8
	s_cbranch_vccz .LBB30_3
	s_branch .LBB30_4
.LBB30_2:
	v_cndmask_b32_e64 v17, s26, 0, s9
	v_mov_b32_e32 v4, s1
	v_mov_b32_e32 v3, s0
	s_andn2_b32 vcc_lo, exec_lo, s8
	s_cbranch_vccnz .LBB30_4
.LBB30_3:
	v_mov_b32_e32 v1, s28
	v_mov_b32_e32 v2, s29
	flat_load_dwordx2 v[3:4], v[1:2]
.LBB30_4:
	v_cndmask_b32_e64 v18, 0, 1, s3
	s_mov_b32 s1, 0
	s_andn2_b32 vcc_lo, exec_lo, s3
	s_mov_b32 s3, 0
	s_cbranch_vccnz .LBB30_10
; %bb.5:
	s_xor_b32 s0, s7, -1
	s_mov_b32 s1, s30
	v_cndmask_b32_e64 v1, 0, 1, s0
	s_andn2_b32 vcc_lo, exec_lo, s0
	s_cbranch_vccnz .LBB30_7
; %bb.6:
	s_load_dword s1, s[30:31], 0x0
.LBB30_7:
	v_cmp_ne_u32_e32 vcc_lo, 1, v1
	s_cbranch_vccnz .LBB30_9
; %bb.8:
	s_load_dword s31, s[30:31], 0x4
.LBB30_9:
	s_waitcnt lgkmcnt(0)
	s_mov_b32 s3, s31
.LBB30_10:
	v_lshrrev_b32_e32 v1, 5, v0
	v_and_b32_e32 v16, 31, v0
	s_mov_b32 s0, 0
	v_lshlrev_b32_e32 v5, 10, v1
	v_lshlrev_b32_e32 v6, 2, v16
	v_or_b32_e32 v2, 0xffffffe0, v16
	v_or3_b32 v5, v5, v6, 0x2000
	v_mov_b32_e32 v6, -1
.LBB30_11:                              ; =>This Inner Loop Header: Depth=1
	v_add_nc_u32_e32 v2, 32, v2
	ds_write_b32 v5, v6
	v_add_nc_u32_e32 v5, 0x80, v5
	v_cmp_lt_u32_e32 vcc_lo, 0xdf, v2
	s_or_b32 s0, vcc_lo, s0
	s_andn2_b32 exec_lo, exec_lo, s0
	s_cbranch_execnz .LBB30_11
; %bb.12:
	s_or_b32 exec_lo, exec_lo, s0
	s_load_dword s0, s[4:5], 0x0
	s_lshl_b32 s6, s6, 3
	s_waitcnt vmcnt(0) lgkmcnt(0)
	buffer_gl0_inv
	v_and_or_b32 v1, 0x7fffff8, s6, v1
	v_cmp_gt_i32_e32 vcc_lo, s0, v1
	s_and_saveexec_b32 s0, vcc_lo
	s_cbranch_execz .LBB30_90
; %bb.13:
	s_load_dwordx16 s[8:23], s[4:5], 0x8
	v_lshlrev_b32_e32 v1, 2, v1
	v_lshlrev_b32_e32 v0, 5, v0
	s_mov_b32 s0, exec_lo
	v_and_b32_e32 v0, 0x1c00, v0
	v_or_b32_e32 v19, 0x2000, v0
	s_waitcnt lgkmcnt(0)
	global_load_dword v5, v1, s[18:19]
	s_waitcnt vmcnt(0)
	v_ashrrev_i32_e32 v6, 31, v5
	v_lshlrev_b64 v[1:2], 2, v[5:6]
	v_add_co_u32 v6, vcc_lo, s8, v1
	v_add_co_ci_u32_e64 v7, null, s9, v2, vcc_lo
	v_add_co_u32 v9, vcc_lo, s14, v1
	v_add_co_ci_u32_e64 v10, null, s15, v2, vcc_lo
	global_load_dwordx2 v[7:8], v[6:7], off
	global_load_dword v6, v[9:10], off
	s_waitcnt vmcnt(1)
	v_subrev_nc_u32_e32 v7, s2, v7
	v_subrev_nc_u32_e32 v10, s2, v8
	v_add_nc_u32_e32 v8, v7, v16
	v_cmpx_lt_i32_e64 v8, v10
	s_cbranch_execz .LBB30_36
; %bb.14:
	v_mov_b32_e32 v11, -1
	s_mov_b32 s6, 0
	s_branch .LBB30_16
.LBB30_15:                              ;   in Loop: Header=BB30_16 Depth=1
	s_or_b32 exec_lo, exec_lo, s7
	v_add_nc_u32_e32 v8, 32, v8
	v_cmp_ge_i32_e32 vcc_lo, v8, v10
	s_or_b32 s6, vcc_lo, s6
	s_andn2_b32 exec_lo, exec_lo, s6
	s_cbranch_execz .LBB30_36
.LBB30_16:                              ; =>This Loop Header: Depth=1
                                        ;     Child Loop BB30_25 Depth 2
	v_ashrrev_i32_e32 v9, 31, v8
	s_mov_b32 s7, 0
                                        ; implicit-def: $sgpr18
                                        ; implicit-def: $sgpr19
                                        ; implicit-def: $sgpr26
	v_lshlrev_b64 v[12:13], 2, v[8:9]
	v_add_co_u32 v12, vcc_lo, s10, v12
	v_add_co_ci_u32_e64 v13, null, s11, v13, vcc_lo
	global_load_dword v9, v[12:13], off
	v_mov_b32_e32 v12, 0x100
	s_waitcnt vmcnt(0)
	v_mul_lo_u32 v14, 0x67, v9
	s_branch .LBB30_25
.LBB30_17:                              ;   in Loop: Header=BB30_25 Depth=2
	s_or_b32 exec_lo, exec_lo, s37
	s_orn2_b32 s35, s35, exec_lo
	s_orn2_b32 s36, s36, exec_lo
.LBB30_18:                              ;   in Loop: Header=BB30_25 Depth=2
	s_or_b32 exec_lo, exec_lo, s34
	s_and_b32 s35, s35, exec_lo
	s_orn2_b32 s34, s36, exec_lo
.LBB30_19:                              ;   in Loop: Header=BB30_25 Depth=2
	s_or_b32 exec_lo, exec_lo, s33
	s_orn2_b32 s33, s35, exec_lo
	s_orn2_b32 s34, s34, exec_lo
.LBB30_20:                              ;   in Loop: Header=BB30_25 Depth=2
	s_or_b32 exec_lo, exec_lo, s31
	s_and_b32 s33, s33, exec_lo
	s_orn2_b32 s31, s34, exec_lo
.LBB30_21:                              ;   in Loop: Header=BB30_25 Depth=2
	s_or_b32 exec_lo, exec_lo, s30
	s_orn2_b32 s30, s33, exec_lo
	s_orn2_b32 s31, s31, exec_lo
.LBB30_22:                              ;   in Loop: Header=BB30_25 Depth=2
	s_or_b32 exec_lo, exec_lo, s29
	s_and_b32 s30, s30, exec_lo
	s_orn2_b32 s29, s31, exec_lo
.LBB30_23:                              ;   in Loop: Header=BB30_25 Depth=2
	s_or_b32 exec_lo, exec_lo, s28
	s_andn2_b32 s26, s26, exec_lo
	s_and_b32 s28, s30, exec_lo
	s_andn2_b32 s19, s19, exec_lo
	s_and_b32 s29, s29, exec_lo
	s_or_b32 s26, s26, s28
	s_or_b32 s19, s19, s29
.LBB30_24:                              ;   in Loop: Header=BB30_25 Depth=2
	s_or_b32 exec_lo, exec_lo, s27
	s_and_b32 s27, exec_lo, s19
	s_or_b32 s7, s27, s7
	s_andn2_b32 s18, s18, exec_lo
	s_and_b32 s27, s26, exec_lo
	s_or_b32 s18, s18, s27
	s_andn2_b32 exec_lo, exec_lo, s7
	s_cbranch_execz .LBB30_34
.LBB30_25:                              ;   Parent Loop BB30_16 Depth=1
                                        ; =>  This Inner Loop Header: Depth=2
	v_and_b32_e32 v13, 0xff, v14
	s_or_b32 s26, s26, exec_lo
	s_or_b32 s19, s19, exec_lo
	s_mov_b32 s27, exec_lo
	v_lshl_add_u32 v15, v13, 2, v19
	ds_read_b32 v20, v15
	s_waitcnt lgkmcnt(0)
	v_cmpx_ne_u32_e64 v20, v9
	s_cbranch_execz .LBB30_24
; %bb.26:                               ;   in Loop: Header=BB30_25 Depth=2
	ds_cmpst_rtn_b32 v15, v15, v11, v9
	s_mov_b32 s29, -1
	s_mov_b32 s30, 0
	s_mov_b32 s28, exec_lo
	s_waitcnt lgkmcnt(0)
	v_cmpx_ne_u32_e32 -1, v15
	s_cbranch_execz .LBB30_23
; %bb.27:                               ;   in Loop: Header=BB30_25 Depth=2
	v_add_nc_u32_e32 v13, 1, v14
	s_mov_b32 s31, -1
	s_mov_b32 s30, -1
	s_mov_b32 s29, exec_lo
	v_and_b32_e32 v13, 0xff, v13
	v_lshl_add_u32 v15, v13, 2, v19
	ds_read_b32 v20, v15
	s_waitcnt lgkmcnt(0)
	v_cmpx_ne_u32_e64 v20, v9
	s_cbranch_execz .LBB30_22
; %bb.28:                               ;   in Loop: Header=BB30_25 Depth=2
	ds_cmpst_rtn_b32 v15, v15, v11, v9
	s_mov_b32 s33, 0
	s_mov_b32 s30, exec_lo
	s_waitcnt lgkmcnt(0)
	v_cmpx_ne_u32_e32 -1, v15
	s_cbranch_execz .LBB30_21
; %bb.29:                               ;   in Loop: Header=BB30_25 Depth=2
	v_add_nc_u32_e32 v13, 2, v14
	s_mov_b32 s34, -1
	s_mov_b32 s33, -1
	s_mov_b32 s31, exec_lo
	v_and_b32_e32 v13, 0xff, v13
	v_lshl_add_u32 v15, v13, 2, v19
	ds_read_b32 v20, v15
	s_waitcnt lgkmcnt(0)
	v_cmpx_ne_u32_e64 v20, v9
	s_cbranch_execz .LBB30_20
; %bb.30:                               ;   in Loop: Header=BB30_25 Depth=2
	ds_cmpst_rtn_b32 v15, v15, v11, v9
	s_mov_b32 s35, 0
	s_mov_b32 s33, exec_lo
	s_waitcnt lgkmcnt(0)
	v_cmpx_ne_u32_e32 -1, v15
	s_cbranch_execz .LBB30_19
; %bb.31:                               ;   in Loop: Header=BB30_25 Depth=2
	v_add_nc_u32_e32 v13, 3, v14
	s_mov_b32 s36, -1
	s_mov_b32 s35, -1
	v_and_b32_e32 v13, 0xff, v13
	v_lshl_add_u32 v15, v13, 2, v19
	ds_read_b32 v14, v15
	s_waitcnt lgkmcnt(0)
	v_cmp_ne_u32_e32 vcc_lo, v14, v9
                                        ; implicit-def: $vgpr14
	s_and_saveexec_b32 s34, vcc_lo
	s_cbranch_execz .LBB30_18
; %bb.32:                               ;   in Loop: Header=BB30_25 Depth=2
	ds_cmpst_rtn_b32 v14, v15, v11, v9
	s_mov_b32 s35, 0
	s_waitcnt lgkmcnt(0)
	v_cmp_ne_u32_e32 vcc_lo, -1, v14
                                        ; implicit-def: $vgpr14
	s_and_saveexec_b32 s37, vcc_lo
	s_cbranch_execz .LBB30_17
; %bb.33:                               ;   in Loop: Header=BB30_25 Depth=2
	v_add_nc_u32_e32 v12, -4, v12
	v_add_nc_u32_e32 v14, 1, v13
	s_mov_b32 s35, exec_lo
	v_cmp_eq_u32_e32 vcc_lo, 0, v12
	s_orn2_b32 s36, vcc_lo, exec_lo
	s_branch .LBB30_17
.LBB30_34:                              ;   in Loop: Header=BB30_16 Depth=1
	s_or_b32 exec_lo, exec_lo, s7
	s_xor_b32 s7, s18, -1
	s_and_saveexec_b32 s18, s7
	s_xor_b32 s7, exec_lo, s18
	s_cbranch_execz .LBB30_15
; %bb.35:                               ;   in Loop: Header=BB30_16 Depth=1
	v_lshl_add_u32 v9, v13, 2, v0
	ds_write_b32 v9, v8
	s_branch .LBB30_15
.LBB30_36:
	s_or_b32 exec_lo, exec_lo, s0
	s_mov_b32 s6, exec_lo
	s_waitcnt vmcnt(0) lgkmcnt(0)
	buffer_gl0_inv
	v_cmpx_lt_i32_e64 v7, v6
	s_cbranch_execz .LBB30_66
; %bb.37:
	v_add_nc_u32_e32 v20, 1, v16
	s_mov_b32 s7, 0
	s_branch .LBB30_40
.LBB30_38:                              ;   in Loop: Header=BB30_40 Depth=1
	s_or_b32 exec_lo, exec_lo, s18
	v_add_nc_u32_e32 v7, 1, v7
	v_cmp_ge_i32_e32 vcc_lo, v7, v6
	s_orn2_b32 s18, vcc_lo, exec_lo
.LBB30_39:                              ;   in Loop: Header=BB30_40 Depth=1
	s_or_b32 exec_lo, exec_lo, s0
	s_and_b32 s0, exec_lo, s18
	s_or_b32 s7, s0, s7
	s_andn2_b32 exec_lo, exec_lo, s7
	s_cbranch_execz .LBB30_66
.LBB30_40:                              ; =>This Loop Header: Depth=1
                                        ;     Child Loop BB30_41 Depth 2
                                        ;     Child Loop BB30_46 Depth 2
                                        ;       Child Loop BB30_55 Depth 3
	v_ashrrev_i32_e32 v8, 31, v7
	s_mov_b32 s0, 0
	v_lshlrev_b64 v[9:10], 2, v[7:8]
	v_lshlrev_b64 v[12:13], 3, v[7:8]
	v_add_co_u32 v9, vcc_lo, s10, v9
	v_add_co_ci_u32_e64 v10, null, s11, v10, vcc_lo
	v_add_co_u32 v12, vcc_lo, s12, v12
	v_add_co_ci_u32_e64 v13, null, s13, v13, vcc_lo
	global_load_dword v9, v[9:10], off
	s_waitcnt vmcnt(0)
	v_subrev_nc_u32_e32 v9, s2, v9
	v_ashrrev_i32_e32 v10, 31, v9
	v_lshlrev_b64 v[10:11], 2, v[9:10]
	v_add_co_u32 v14, vcc_lo, s8, v10
	v_add_co_ci_u32_e64 v15, null, s9, v11, vcc_lo
	v_add_co_u32 v21, vcc_lo, s14, v10
	v_add_co_ci_u32_e64 v22, null, s15, v11, vcc_lo
	global_load_dwordx2 v[8:9], v[12:13], off
	global_load_dword v14, v[14:15], off offset:4
	global_load_dword v15, v[21:22], off
	v_add_co_u32 v10, vcc_lo, s16, v10
	v_add_co_ci_u32_e64 v11, null, s17, v11, vcc_lo
.LBB30_41:                              ;   Parent Loop BB30_40 Depth=1
                                        ; =>  This Inner Loop Header: Depth=2
	global_load_dword v21, v[10:11], off glc dlc
	s_waitcnt vmcnt(0)
	v_cmp_ne_u32_e32 vcc_lo, 0, v21
	s_or_b32 s0, vcc_lo, s0
	s_andn2_b32 exec_lo, exec_lo, s0
	s_cbranch_execnz .LBB30_41
; %bb.42:                               ;   in Loop: Header=BB30_40 Depth=1
	s_or_b32 exec_lo, exec_lo, s0
	v_subrev_nc_u32_e32 v21, s2, v14
	v_cmp_eq_u32_e32 vcc_lo, -1, v15
	buffer_gl1_inv
	buffer_gl0_inv
	s_mov_b32 s18, -1
	v_add_nc_u32_e32 v10, -1, v21
	v_cndmask_b32_e32 v10, v15, v10, vcc_lo
	v_ashrrev_i32_e32 v11, 31, v10
	v_lshlrev_b64 v[14:15], 3, v[10:11]
	v_add_co_u32 v14, vcc_lo, s12, v14
	v_add_co_ci_u32_e64 v15, null, s13, v15, vcc_lo
	global_load_dwordx2 v[14:15], v[14:15], off
	s_waitcnt vmcnt(0)
	v_cmp_neq_f32_e32 vcc_lo, 0, v14
	v_cmp_neq_f32_e64 s0, 0, v15
	s_or_b32 s19, vcc_lo, s0
	s_and_saveexec_b32 s0, s19
	s_cbranch_execz .LBB30_39
; %bb.43:                               ;   in Loop: Header=BB30_40 Depth=1
	v_mul_f32_e32 v11, v15, v15
	s_mov_b32 s18, exec_lo
	v_fmac_f32_e32 v11, v14, v14
	v_div_scale_f32 v22, null, v11, v11, 1.0
	v_div_scale_f32 v25, vcc_lo, 1.0, v11, 1.0
	v_rcp_f32_e32 v23, v22
	v_fma_f32 v24, -v22, v23, 1.0
	v_fmac_f32_e32 v23, v24, v23
	v_mul_f32_e32 v24, v25, v23
	v_fma_f32 v26, -v22, v24, v25
	v_fmac_f32_e32 v24, v26, v23
	v_fma_f32 v22, -v22, v24, v25
	v_mul_f32_e32 v25, v9, v15
	v_mul_f32_e64 v15, v15, -v8
	v_div_fmas_f32 v22, v22, v23, v24
	v_fmac_f32_e32 v25, v8, v14
	v_fmac_f32_e32 v15, v9, v14
	v_add_nc_u32_e32 v8, v20, v10
	v_div_fixup_f32 v11, v22, v11, 1.0
	v_mul_f32_e32 v10, v25, v11
	v_mul_f32_e32 v11, v15, v11
	global_store_dwordx2 v[12:13], v[10:11], off
	v_cmpx_lt_i32_e64 v8, v21
	s_cbranch_execz .LBB30_38
; %bb.44:                               ;   in Loop: Header=BB30_40 Depth=1
	s_mov_b32 s19, 0
	s_branch .LBB30_46
.LBB30_45:                              ;   in Loop: Header=BB30_46 Depth=2
	s_or_b32 exec_lo, exec_lo, s26
	v_add_nc_u32_e32 v8, 32, v8
	v_cmp_ge_i32_e32 vcc_lo, v8, v21
	s_or_b32 s19, vcc_lo, s19
	s_andn2_b32 exec_lo, exec_lo, s19
	s_cbranch_execz .LBB30_38
.LBB30_46:                              ;   Parent Loop BB30_40 Depth=1
                                        ; =>  This Loop Header: Depth=2
                                        ;       Child Loop BB30_55 Depth 3
	v_ashrrev_i32_e32 v9, 31, v8
	s_mov_b32 s26, 0
                                        ; implicit-def: $sgpr27
                                        ; implicit-def: $sgpr28
                                        ; implicit-def: $sgpr29
	v_lshlrev_b64 v[12:13], 2, v[8:9]
	v_add_co_u32 v12, vcc_lo, s10, v12
	v_add_co_ci_u32_e64 v13, null, s11, v13, vcc_lo
	global_load_dword v12, v[12:13], off
	v_mov_b32_e32 v13, 0x100
	s_waitcnt vmcnt(0)
	v_mul_lo_u32 v15, 0x67, v12
	s_branch .LBB30_55
.LBB30_47:                              ;   in Loop: Header=BB30_55 Depth=3
	s_or_b32 exec_lo, exec_lo, s40
	s_orn2_b32 s38, s38, exec_lo
	s_orn2_b32 s39, s39, exec_lo
.LBB30_48:                              ;   in Loop: Header=BB30_55 Depth=3
	s_or_b32 exec_lo, exec_lo, s37
	s_and_b32 s38, s38, exec_lo
	s_orn2_b32 s37, s39, exec_lo
.LBB30_49:                              ;   in Loop: Header=BB30_55 Depth=3
	s_or_b32 exec_lo, exec_lo, s36
	s_orn2_b32 s36, s38, exec_lo
	s_orn2_b32 s37, s37, exec_lo
.LBB30_50:                              ;   in Loop: Header=BB30_55 Depth=3
	s_or_b32 exec_lo, exec_lo, s35
	s_and_b32 s36, s36, exec_lo
	s_orn2_b32 s35, s37, exec_lo
.LBB30_51:                              ;   in Loop: Header=BB30_55 Depth=3
	s_or_b32 exec_lo, exec_lo, s34
	s_orn2_b32 s34, s36, exec_lo
	s_orn2_b32 s35, s35, exec_lo
.LBB30_52:                              ;   in Loop: Header=BB30_55 Depth=3
	s_or_b32 exec_lo, exec_lo, s33
	s_and_b32 s34, s34, exec_lo
	s_orn2_b32 s33, s35, exec_lo
.LBB30_53:                              ;   in Loop: Header=BB30_55 Depth=3
	s_or_b32 exec_lo, exec_lo, s31
	s_andn2_b32 s29, s29, exec_lo
	s_and_b32 s31, s34, exec_lo
	s_andn2_b32 s28, s28, exec_lo
	s_and_b32 s33, s33, exec_lo
	s_or_b32 s29, s29, s31
	s_or_b32 s28, s28, s33
.LBB30_54:                              ;   in Loop: Header=BB30_55 Depth=3
	s_or_b32 exec_lo, exec_lo, s30
	s_and_b32 s30, exec_lo, s28
	s_or_b32 s26, s30, s26
	s_andn2_b32 s27, s27, exec_lo
	s_and_b32 s30, s29, exec_lo
	s_or_b32 s27, s27, s30
	s_andn2_b32 exec_lo, exec_lo, s26
	s_cbranch_execz .LBB30_64
.LBB30_55:                              ;   Parent Loop BB30_40 Depth=1
                                        ;     Parent Loop BB30_46 Depth=2
                                        ; =>    This Inner Loop Header: Depth=3
	v_and_b32_e32 v14, 0xff, v15
	s_or_b32 s29, s29, exec_lo
	s_or_b32 s28, s28, exec_lo
	s_mov_b32 s30, exec_lo
	v_lshl_add_u32 v22, v14, 2, v19
	ds_read_b32 v22, v22
	s_waitcnt lgkmcnt(0)
	v_cmpx_ne_u32_e32 -1, v22
	s_cbranch_execz .LBB30_54
; %bb.56:                               ;   in Loop: Header=BB30_55 Depth=3
	s_mov_b32 s33, -1
	s_mov_b32 s34, 0
	s_mov_b32 s31, exec_lo
	v_cmpx_ne_u32_e64 v22, v12
	s_cbranch_execz .LBB30_53
; %bb.57:                               ;   in Loop: Header=BB30_55 Depth=3
	v_add_nc_u32_e32 v14, 1, v15
	s_mov_b32 s35, -1
	s_mov_b32 s34, -1
	s_mov_b32 s33, exec_lo
	v_and_b32_e32 v14, 0xff, v14
	v_lshl_add_u32 v22, v14, 2, v19
	ds_read_b32 v22, v22
	s_waitcnt lgkmcnt(0)
	v_cmpx_ne_u32_e32 -1, v22
	s_cbranch_execz .LBB30_52
; %bb.58:                               ;   in Loop: Header=BB30_55 Depth=3
	s_mov_b32 s36, 0
	s_mov_b32 s34, exec_lo
	v_cmpx_ne_u32_e64 v22, v12
	s_cbranch_execz .LBB30_51
; %bb.59:                               ;   in Loop: Header=BB30_55 Depth=3
	v_add_nc_u32_e32 v14, 2, v15
	s_mov_b32 s37, -1
	s_mov_b32 s36, -1
	s_mov_b32 s35, exec_lo
	v_and_b32_e32 v14, 0xff, v14
	v_lshl_add_u32 v22, v14, 2, v19
	ds_read_b32 v22, v22
	s_waitcnt lgkmcnt(0)
	v_cmpx_ne_u32_e32 -1, v22
	s_cbranch_execz .LBB30_50
; %bb.60:                               ;   in Loop: Header=BB30_55 Depth=3
	s_mov_b32 s38, 0
	s_mov_b32 s36, exec_lo
	v_cmpx_ne_u32_e64 v22, v12
	s_cbranch_execz .LBB30_49
; %bb.61:                               ;   in Loop: Header=BB30_55 Depth=3
	v_add_nc_u32_e32 v14, 3, v15
	s_mov_b32 s39, -1
	s_mov_b32 s38, -1
	s_mov_b32 s37, exec_lo
	v_and_b32_e32 v14, 0xff, v14
	v_lshl_add_u32 v15, v14, 2, v19
	ds_read_b32 v22, v15
                                        ; implicit-def: $vgpr15
	s_waitcnt lgkmcnt(0)
	v_cmpx_ne_u32_e32 -1, v22
	s_cbranch_execz .LBB30_48
; %bb.62:                               ;   in Loop: Header=BB30_55 Depth=3
	s_mov_b32 s38, 0
	s_mov_b32 s40, exec_lo
                                        ; implicit-def: $vgpr15
	v_cmpx_ne_u32_e64 v22, v12
	s_cbranch_execz .LBB30_47
; %bb.63:                               ;   in Loop: Header=BB30_55 Depth=3
	v_add_nc_u32_e32 v13, -4, v13
	v_add_nc_u32_e32 v15, 1, v14
	s_mov_b32 s38, exec_lo
	v_cmp_eq_u32_e32 vcc_lo, 0, v13
	s_orn2_b32 s39, vcc_lo, exec_lo
	s_branch .LBB30_47
.LBB30_64:                              ;   in Loop: Header=BB30_46 Depth=2
	s_or_b32 exec_lo, exec_lo, s26
	s_xor_b32 s26, s27, -1
	s_and_saveexec_b32 s27, s26
	s_xor_b32 s26, exec_lo, s27
	s_cbranch_execz .LBB30_45
; %bb.65:                               ;   in Loop: Header=BB30_46 Depth=2
	v_lshl_add_u32 v12, v14, 2, v0
	v_lshlrev_b64 v[14:15], 3, v[8:9]
	ds_read_b32 v12, v12
	v_add_co_u32 v14, vcc_lo, s12, v14
	v_add_co_ci_u32_e64 v15, null, s13, v15, vcc_lo
	s_waitcnt lgkmcnt(0)
	v_ashrrev_i32_e32 v13, 31, v12
	v_lshlrev_b64 v[12:13], 3, v[12:13]
	v_add_co_u32 v12, vcc_lo, s12, v12
	v_add_co_ci_u32_e64 v13, null, s13, v13, vcc_lo
	s_clause 0x1
	global_load_dwordx2 v[14:15], v[14:15], off
	global_load_dwordx2 v[22:23], v[12:13], off
	s_waitcnt vmcnt(0)
	v_fma_f32 v22, -v10, v14, v22
	v_fma_f32 v9, -v11, v14, v23
	v_fmac_f32_e32 v22, v11, v15
	v_fma_f32 v23, -v10, v15, v9
	global_store_dwordx2 v[12:13], v[22:23], off
	s_branch .LBB30_45
.LBB30_66:
	s_or_b32 exec_lo, exec_lo, s6
	s_mov_b32 s6, exec_lo
	s_waitcnt_vscnt null, 0x0
	buffer_gl0_inv
	v_cmpx_lt_i32_e32 -1, v6
	s_cbranch_execz .LBB30_88
; %bb.67:
	v_mov_b32_e32 v7, 0
	s_mov_b32 s0, exec_lo
	v_lshlrev_b64 v[8:9], 3, v[6:7]
	v_add_co_u32 v10, vcc_lo, s12, v8
	v_add_co_ci_u32_e64 v11, null, s13, v9, vcc_lo
	global_load_dwordx2 v[8:9], v[10:11], off
	s_waitcnt vmcnt(0)
	v_cmp_gt_f32_e32 vcc_lo, 0, v8
	v_cndmask_b32_e64 v0, v8, -v8, vcc_lo
	v_cmp_gt_f32_e32 vcc_lo, 0, v9
	v_cndmask_b32_e64 v6, v9, -v9, vcc_lo
	v_cmpx_ngt_f32_e32 v0, v6
	s_xor_b32 s7, exec_lo, s0
	s_cbranch_execz .LBB30_71
; %bb.68:
	s_mov_b32 s8, exec_lo
	v_cmpx_neq_f32_e32 0, v9
	s_cbranch_execz .LBB30_70
; %bb.69:
	v_div_scale_f32 v7, null, v6, v6, v0
	v_div_scale_f32 v14, vcc_lo, v0, v6, v0
	v_rcp_f32_e32 v12, v7
	v_fma_f32 v13, -v7, v12, 1.0
	v_fmac_f32_e32 v12, v13, v12
	v_mul_f32_e32 v13, v14, v12
	v_fma_f32 v15, -v7, v13, v14
	v_fmac_f32_e32 v13, v15, v12
	v_fma_f32 v7, -v7, v13, v14
	v_div_fmas_f32 v7, v7, v12, v13
	v_div_fixup_f32 v0, v7, v6, v0
	v_fma_f32 v0, v0, v0, 1.0
	v_mul_f32_e32 v7, 0x4f800000, v0
	v_cmp_gt_f32_e32 vcc_lo, 0xf800000, v0
	v_cndmask_b32_e32 v0, v0, v7, vcc_lo
	v_sqrt_f32_e32 v7, v0
	v_add_nc_u32_e32 v12, -1, v7
	v_add_nc_u32_e32 v13, 1, v7
	v_fma_f32 v14, -v12, v7, v0
	v_fma_f32 v15, -v13, v7, v0
	v_cmp_ge_f32_e64 s0, 0, v14
	v_cndmask_b32_e64 v7, v7, v12, s0
	v_cmp_lt_f32_e64 s0, 0, v15
	v_cndmask_b32_e64 v7, v7, v13, s0
	v_mul_f32_e32 v12, 0x37800000, v7
	v_cndmask_b32_e32 v7, v7, v12, vcc_lo
	v_cmp_class_f32_e64 vcc_lo, v0, 0x260
	v_cndmask_b32_e32 v0, v7, v0, vcc_lo
	v_mul_f32_e32 v7, v6, v0
.LBB30_70:
	s_or_b32 exec_lo, exec_lo, s8
                                        ; implicit-def: $vgpr0
                                        ; implicit-def: $vgpr6
.LBB30_71:
	s_andn2_saveexec_b32 s7, s7
	s_cbranch_execz .LBB30_73
; %bb.72:
	v_div_scale_f32 v7, null, v0, v0, v6
	v_div_scale_f32 v14, vcc_lo, v6, v0, v6
	v_rcp_f32_e32 v12, v7
	v_fma_f32 v13, -v7, v12, 1.0
	v_fmac_f32_e32 v12, v13, v12
	v_mul_f32_e32 v13, v14, v12
	v_fma_f32 v15, -v7, v13, v14
	v_fmac_f32_e32 v13, v15, v12
	v_fma_f32 v7, -v7, v13, v14
	v_div_fmas_f32 v7, v7, v12, v13
	v_div_fixup_f32 v6, v7, v0, v6
	v_fma_f32 v6, v6, v6, 1.0
	v_mul_f32_e32 v7, 0x4f800000, v6
	v_cmp_gt_f32_e32 vcc_lo, 0xf800000, v6
	v_cndmask_b32_e32 v6, v6, v7, vcc_lo
	v_sqrt_f32_e32 v7, v6
	v_add_nc_u32_e32 v12, -1, v7
	v_add_nc_u32_e32 v13, 1, v7
	v_fma_f32 v14, -v12, v7, v6
	v_fma_f32 v15, -v13, v7, v6
	v_cmp_ge_f32_e64 s0, 0, v14
	v_cndmask_b32_e64 v7, v7, v12, s0
	v_cmp_lt_f32_e64 s0, 0, v15
	v_cndmask_b32_e64 v7, v7, v13, s0
	v_mul_f32_e32 v12, 0x37800000, v7
	v_cndmask_b32_e32 v7, v7, v12, vcc_lo
	v_cmp_class_f32_e64 vcc_lo, v6, 0x260
	v_cndmask_b32_e32 v6, v7, v6, vcc_lo
	v_mul_f32_e32 v7, v0, v6
.LBB30_73:
	s_or_b32 exec_lo, exec_lo, s7
	v_cvt_f64_f32_e32 v[6:7], v7
	v_cmp_ne_u32_e32 vcc_lo, 1, v18
	v_cmp_eq_u32_e64 s0, 0, v16
	s_mov_b32 s7, -1
	s_cbranch_vccnz .LBB30_77
; %bb.74:
	v_cvt_f64_f32_e32 v[12:13], v17
	s_cmp_eq_u64 s[24:25], 8
	s_cselect_b32 vcc_lo, -1, 0
	v_cndmask_b32_e32 v4, v13, v4, vcc_lo
	v_cndmask_b32_e32 v3, v12, v3, vcc_lo
	v_cmp_ge_f64_e32 vcc_lo, v[3:4], v[6:7]
	s_and_b32 s8, s0, vcc_lo
	s_and_saveexec_b32 s7, s8
	s_cbranch_execz .LBB30_76
; %bb.75:
	v_mov_b32_e32 v3, s1
	v_mov_b32_e32 v4, s3
	global_store_dwordx2 v[10:11], v[3:4], off
	s_waitcnt_vscnt null, 0x0
	buffer_gl1_inv
	buffer_gl0_inv
.LBB30_76:
	s_or_b32 exec_lo, exec_lo, s7
	s_mov_b32 s7, 0
.LBB30_77:
	s_andn2_b32 vcc_lo, exec_lo, s7
	s_cbranch_vccnz .LBB30_88
; %bb.78:
	s_load_dwordx2 s[4:5], s[4:5], 0x48
	v_add_nc_u32_e32 v0, s2, v5
	s_waitcnt lgkmcnt(0)
	v_cmp_ge_f64_e32 vcc_lo, s[4:5], v[6:7]
	s_and_b32 s2, s0, vcc_lo
	s_and_saveexec_b32 s1, s2
	s_cbranch_execz .LBB30_83
; %bb.79:
	s_mov_b32 s3, exec_lo
	s_brev_b32 s2, -2
.LBB30_80:                              ; =>This Inner Loop Header: Depth=1
	s_ff1_i32_b32 s4, s3
	v_readlane_b32 s5, v0, s4
	s_lshl_b32 s4, 1, s4
	s_andn2_b32 s3, s3, s4
	s_min_i32 s2, s2, s5
	s_cmp_lg_u32 s3, 0
	s_cbranch_scc1 .LBB30_80
; %bb.81:
	v_mbcnt_lo_u32_b32 v3, exec_lo, 0
	s_mov_b32 s3, exec_lo
	v_cmpx_eq_u32_e32 0, v3
	s_xor_b32 s3, exec_lo, s3
	s_cbranch_execz .LBB30_83
; %bb.82:
	v_mov_b32_e32 v3, 0
	v_mov_b32_e32 v4, s2
	global_atomic_smin v3, v4, s[22:23]
.LBB30_83:
	s_or_b32 exec_lo, exec_lo, s1
	v_cmp_eq_f32_e32 vcc_lo, 0, v8
	v_cmp_eq_f32_e64 s1, 0, v9
	s_and_b32 s1, vcc_lo, s1
	s_and_b32 s0, s0, s1
	s_and_b32 exec_lo, exec_lo, s0
	s_cbranch_execz .LBB30_88
; %bb.84:
	s_mov_b32 s1, exec_lo
	s_brev_b32 s0, -2
.LBB30_85:                              ; =>This Inner Loop Header: Depth=1
	s_ff1_i32_b32 s2, s1
	v_readlane_b32 s3, v0, s2
	s_lshl_b32 s2, 1, s2
	s_andn2_b32 s1, s1, s2
	s_min_i32 s0, s0, s3
	s_cmp_lg_u32 s1, 0
	s_cbranch_scc1 .LBB30_85
; %bb.86:
	v_mbcnt_lo_u32_b32 v0, exec_lo, 0
	s_mov_b32 s1, exec_lo
	v_cmpx_eq_u32_e32 0, v0
	s_xor_b32 s1, exec_lo, s1
	s_cbranch_execz .LBB30_88
; %bb.87:
	v_mov_b32_e32 v0, 0
	v_mov_b32_e32 v3, s0
	global_atomic_smin v0, v3, s[20:21]
.LBB30_88:
	s_or_b32 exec_lo, exec_lo, s6
	v_cmp_eq_u32_e32 vcc_lo, 0, v16
	s_waitcnt_vscnt null, 0x0
	buffer_gl1_inv
	buffer_gl0_inv
	s_and_b32 exec_lo, exec_lo, vcc_lo
	s_cbranch_execz .LBB30_90
; %bb.89:
	v_add_co_u32 v0, vcc_lo, s16, v1
	v_add_co_ci_u32_e64 v1, null, s17, v2, vcc_lo
	v_mov_b32_e32 v2, 1
	global_store_dword v[0:1], v2, off
.LBB30_90:
	s_endpgm
	.section	.rodata,"a",@progbits
	.p2align	6, 0x0
	.amdhsa_kernel _ZN9rocsparseL12csrilu0_hashILj256ELj32ELj8E21rocsparse_complex_numIfEEEviPKiS4_PT2_S4_PiS4_S7_S7_d21rocsparse_index_base_imNS_24const_host_device_scalarIfEENS9_IdEENS9_IS5_EEb
		.amdhsa_group_segment_fixed_size 16384
		.amdhsa_private_segment_fixed_size 0
		.amdhsa_kernarg_size 124
		.amdhsa_user_sgpr_count 6
		.amdhsa_user_sgpr_private_segment_buffer 1
		.amdhsa_user_sgpr_dispatch_ptr 0
		.amdhsa_user_sgpr_queue_ptr 0
		.amdhsa_user_sgpr_kernarg_segment_ptr 1
		.amdhsa_user_sgpr_dispatch_id 0
		.amdhsa_user_sgpr_flat_scratch_init 0
		.amdhsa_user_sgpr_private_segment_size 0
		.amdhsa_wavefront_size32 1
		.amdhsa_uses_dynamic_stack 0
		.amdhsa_system_sgpr_private_segment_wavefront_offset 0
		.amdhsa_system_sgpr_workgroup_id_x 1
		.amdhsa_system_sgpr_workgroup_id_y 0
		.amdhsa_system_sgpr_workgroup_id_z 0
		.amdhsa_system_sgpr_workgroup_info 0
		.amdhsa_system_vgpr_workitem_id 0
		.amdhsa_next_free_vgpr 27
		.amdhsa_next_free_sgpr 41
		.amdhsa_reserve_vcc 1
		.amdhsa_reserve_flat_scratch 0
		.amdhsa_float_round_mode_32 0
		.amdhsa_float_round_mode_16_64 0
		.amdhsa_float_denorm_mode_32 3
		.amdhsa_float_denorm_mode_16_64 3
		.amdhsa_dx10_clamp 1
		.amdhsa_ieee_mode 1
		.amdhsa_fp16_overflow 0
		.amdhsa_workgroup_processor_mode 1
		.amdhsa_memory_ordered 1
		.amdhsa_forward_progress 1
		.amdhsa_shared_vgpr_count 0
		.amdhsa_exception_fp_ieee_invalid_op 0
		.amdhsa_exception_fp_denorm_src 0
		.amdhsa_exception_fp_ieee_div_zero 0
		.amdhsa_exception_fp_ieee_overflow 0
		.amdhsa_exception_fp_ieee_underflow 0
		.amdhsa_exception_fp_ieee_inexact 0
		.amdhsa_exception_int_div_zero 0
	.end_amdhsa_kernel
	.section	.text._ZN9rocsparseL12csrilu0_hashILj256ELj32ELj8E21rocsparse_complex_numIfEEEviPKiS4_PT2_S4_PiS4_S7_S7_d21rocsparse_index_base_imNS_24const_host_device_scalarIfEENS9_IdEENS9_IS5_EEb,"axG",@progbits,_ZN9rocsparseL12csrilu0_hashILj256ELj32ELj8E21rocsparse_complex_numIfEEEviPKiS4_PT2_S4_PiS4_S7_S7_d21rocsparse_index_base_imNS_24const_host_device_scalarIfEENS9_IdEENS9_IS5_EEb,comdat
.Lfunc_end30:
	.size	_ZN9rocsparseL12csrilu0_hashILj256ELj32ELj8E21rocsparse_complex_numIfEEEviPKiS4_PT2_S4_PiS4_S7_S7_d21rocsparse_index_base_imNS_24const_host_device_scalarIfEENS9_IdEENS9_IS5_EEb, .Lfunc_end30-_ZN9rocsparseL12csrilu0_hashILj256ELj32ELj8E21rocsparse_complex_numIfEEEviPKiS4_PT2_S4_PiS4_S7_S7_d21rocsparse_index_base_imNS_24const_host_device_scalarIfEENS9_IdEENS9_IS5_EEb
                                        ; -- End function
	.set _ZN9rocsparseL12csrilu0_hashILj256ELj32ELj8E21rocsparse_complex_numIfEEEviPKiS4_PT2_S4_PiS4_S7_S7_d21rocsparse_index_base_imNS_24const_host_device_scalarIfEENS9_IdEENS9_IS5_EEb.num_vgpr, 27
	.set _ZN9rocsparseL12csrilu0_hashILj256ELj32ELj8E21rocsparse_complex_numIfEEEviPKiS4_PT2_S4_PiS4_S7_S7_d21rocsparse_index_base_imNS_24const_host_device_scalarIfEENS9_IdEENS9_IS5_EEb.num_agpr, 0
	.set _ZN9rocsparseL12csrilu0_hashILj256ELj32ELj8E21rocsparse_complex_numIfEEEviPKiS4_PT2_S4_PiS4_S7_S7_d21rocsparse_index_base_imNS_24const_host_device_scalarIfEENS9_IdEENS9_IS5_EEb.numbered_sgpr, 41
	.set _ZN9rocsparseL12csrilu0_hashILj256ELj32ELj8E21rocsparse_complex_numIfEEEviPKiS4_PT2_S4_PiS4_S7_S7_d21rocsparse_index_base_imNS_24const_host_device_scalarIfEENS9_IdEENS9_IS5_EEb.num_named_barrier, 0
	.set _ZN9rocsparseL12csrilu0_hashILj256ELj32ELj8E21rocsparse_complex_numIfEEEviPKiS4_PT2_S4_PiS4_S7_S7_d21rocsparse_index_base_imNS_24const_host_device_scalarIfEENS9_IdEENS9_IS5_EEb.private_seg_size, 0
	.set _ZN9rocsparseL12csrilu0_hashILj256ELj32ELj8E21rocsparse_complex_numIfEEEviPKiS4_PT2_S4_PiS4_S7_S7_d21rocsparse_index_base_imNS_24const_host_device_scalarIfEENS9_IdEENS9_IS5_EEb.uses_vcc, 1
	.set _ZN9rocsparseL12csrilu0_hashILj256ELj32ELj8E21rocsparse_complex_numIfEEEviPKiS4_PT2_S4_PiS4_S7_S7_d21rocsparse_index_base_imNS_24const_host_device_scalarIfEENS9_IdEENS9_IS5_EEb.uses_flat_scratch, 0
	.set _ZN9rocsparseL12csrilu0_hashILj256ELj32ELj8E21rocsparse_complex_numIfEEEviPKiS4_PT2_S4_PiS4_S7_S7_d21rocsparse_index_base_imNS_24const_host_device_scalarIfEENS9_IdEENS9_IS5_EEb.has_dyn_sized_stack, 0
	.set _ZN9rocsparseL12csrilu0_hashILj256ELj32ELj8E21rocsparse_complex_numIfEEEviPKiS4_PT2_S4_PiS4_S7_S7_d21rocsparse_index_base_imNS_24const_host_device_scalarIfEENS9_IdEENS9_IS5_EEb.has_recursion, 0
	.set _ZN9rocsparseL12csrilu0_hashILj256ELj32ELj8E21rocsparse_complex_numIfEEEviPKiS4_PT2_S4_PiS4_S7_S7_d21rocsparse_index_base_imNS_24const_host_device_scalarIfEENS9_IdEENS9_IS5_EEb.has_indirect_call, 0
	.section	.AMDGPU.csdata,"",@progbits
; Kernel info:
; codeLenInByte = 3280
; TotalNumSgprs: 43
; NumVgprs: 27
; ScratchSize: 0
; MemoryBound: 0
; FloatMode: 240
; IeeeMode: 1
; LDSByteSize: 16384 bytes/workgroup (compile time only)
; SGPRBlocks: 0
; VGPRBlocks: 3
; NumSGPRsForWavesPerEU: 43
; NumVGPRsForWavesPerEU: 27
; Occupancy: 16
; WaveLimiterHint : 1
; COMPUTE_PGM_RSRC2:SCRATCH_EN: 0
; COMPUTE_PGM_RSRC2:USER_SGPR: 6
; COMPUTE_PGM_RSRC2:TRAP_HANDLER: 0
; COMPUTE_PGM_RSRC2:TGID_X_EN: 1
; COMPUTE_PGM_RSRC2:TGID_Y_EN: 0
; COMPUTE_PGM_RSRC2:TGID_Z_EN: 0
; COMPUTE_PGM_RSRC2:TIDIG_COMP_CNT: 0
	.section	.text._ZN9rocsparseL12csrilu0_hashILj256ELj32ELj16E21rocsparse_complex_numIfEEEviPKiS4_PT2_S4_PiS4_S7_S7_d21rocsparse_index_base_imNS_24const_host_device_scalarIfEENS9_IdEENS9_IS5_EEb,"axG",@progbits,_ZN9rocsparseL12csrilu0_hashILj256ELj32ELj16E21rocsparse_complex_numIfEEEviPKiS4_PT2_S4_PiS4_S7_S7_d21rocsparse_index_base_imNS_24const_host_device_scalarIfEENS9_IdEENS9_IS5_EEb,comdat
	.globl	_ZN9rocsparseL12csrilu0_hashILj256ELj32ELj16E21rocsparse_complex_numIfEEEviPKiS4_PT2_S4_PiS4_S7_S7_d21rocsparse_index_base_imNS_24const_host_device_scalarIfEENS9_IdEENS9_IS5_EEb ; -- Begin function _ZN9rocsparseL12csrilu0_hashILj256ELj32ELj16E21rocsparse_complex_numIfEEEviPKiS4_PT2_S4_PiS4_S7_S7_d21rocsparse_index_base_imNS_24const_host_device_scalarIfEENS9_IdEENS9_IS5_EEb
	.p2align	8
	.type	_ZN9rocsparseL12csrilu0_hashILj256ELj32ELj16E21rocsparse_complex_numIfEEEviPKiS4_PT2_S4_PiS4_S7_S7_d21rocsparse_index_base_imNS_24const_host_device_scalarIfEENS9_IdEENS9_IS5_EEb,@function
_ZN9rocsparseL12csrilu0_hashILj256ELj32ELj16E21rocsparse_complex_numIfEEEviPKiS4_PT2_S4_PiS4_S7_S7_d21rocsparse_index_base_imNS_24const_host_device_scalarIfEENS9_IdEENS9_IS5_EEb: ; @_ZN9rocsparseL12csrilu0_hashILj256ELj32ELj16E21rocsparse_complex_numIfEEEviPKiS4_PT2_S4_PiS4_S7_S7_d21rocsparse_index_base_imNS_24const_host_device_scalarIfEENS9_IdEENS9_IS5_EEb
; %bb.0:
	s_clause 0x2
	s_load_dword s0, s[4:5], 0x78
	s_load_dwordx2 s[2:3], s[4:5], 0x50
	s_load_dwordx8 s[24:31], s[4:5], 0x58
	s_waitcnt lgkmcnt(0)
	s_bitcmp1_b32 s0, 0
	s_cselect_b32 s7, -1, 0
	s_cmp_eq_u32 s3, 0
	s_cselect_b32 s9, -1, 0
	s_cmp_lg_u32 s3, 0
	s_cselect_b32 s3, -1, 0
	s_or_b32 s10, s9, s7
	s_xor_b32 s8, s10, -1
	s_and_b32 s0, s9, exec_lo
	s_cselect_b32 s1, 0, s29
	s_cselect_b32 s0, 0, s28
	s_and_b32 vcc_lo, exec_lo, s10
	s_cbranch_vccnz .LBB31_2
; %bb.1:
	s_load_dword s0, s[26:27], 0x0
	s_waitcnt lgkmcnt(0)
	v_mov_b32_e32 v17, s0
	s_mov_b64 s[0:1], s[28:29]
	v_mov_b32_e32 v4, s1
	v_mov_b32_e32 v3, s0
	s_andn2_b32 vcc_lo, exec_lo, s8
	s_cbranch_vccz .LBB31_3
	s_branch .LBB31_4
.LBB31_2:
	v_cndmask_b32_e64 v17, s26, 0, s9
	v_mov_b32_e32 v4, s1
	v_mov_b32_e32 v3, s0
	s_andn2_b32 vcc_lo, exec_lo, s8
	s_cbranch_vccnz .LBB31_4
.LBB31_3:
	v_mov_b32_e32 v1, s28
	v_mov_b32_e32 v2, s29
	flat_load_dwordx2 v[3:4], v[1:2]
.LBB31_4:
	v_cndmask_b32_e64 v18, 0, 1, s3
	s_mov_b32 s1, 0
	s_andn2_b32 vcc_lo, exec_lo, s3
	s_mov_b32 s3, 0
	s_cbranch_vccnz .LBB31_10
; %bb.5:
	s_xor_b32 s0, s7, -1
	s_mov_b32 s1, s30
	v_cndmask_b32_e64 v1, 0, 1, s0
	s_andn2_b32 vcc_lo, exec_lo, s0
	s_cbranch_vccnz .LBB31_7
; %bb.6:
	s_load_dword s1, s[30:31], 0x0
.LBB31_7:
	v_cmp_ne_u32_e32 vcc_lo, 1, v1
	s_cbranch_vccnz .LBB31_9
; %bb.8:
	s_load_dword s31, s[30:31], 0x4
.LBB31_9:
	s_waitcnt lgkmcnt(0)
	s_mov_b32 s3, s31
.LBB31_10:
	v_lshrrev_b32_e32 v1, 5, v0
	v_and_b32_e32 v16, 31, v0
	s_mov_b32 s0, 0
	v_lshlrev_b32_e32 v5, 11, v1
	v_lshlrev_b32_e32 v6, 2, v16
	v_or_b32_e32 v2, 0xffffffe0, v16
	v_or3_b32 v5, v5, v6, 0x4000
	v_mov_b32_e32 v6, -1
.LBB31_11:                              ; =>This Inner Loop Header: Depth=1
	v_add_nc_u32_e32 v2, 32, v2
	ds_write_b32 v5, v6
	v_add_nc_u32_e32 v5, 0x80, v5
	v_cmp_lt_u32_e32 vcc_lo, 0x1df, v2
	s_or_b32 s0, vcc_lo, s0
	s_andn2_b32 exec_lo, exec_lo, s0
	s_cbranch_execnz .LBB31_11
; %bb.12:
	s_or_b32 exec_lo, exec_lo, s0
	s_load_dword s0, s[4:5], 0x0
	s_lshl_b32 s6, s6, 3
	s_waitcnt vmcnt(0) lgkmcnt(0)
	buffer_gl0_inv
	v_and_or_b32 v1, 0x7fffff8, s6, v1
	v_cmp_gt_i32_e32 vcc_lo, s0, v1
	s_and_saveexec_b32 s0, vcc_lo
	s_cbranch_execz .LBB31_90
; %bb.13:
	s_load_dwordx16 s[8:23], s[4:5], 0x8
	v_lshlrev_b32_e32 v1, 2, v1
	v_lshlrev_b32_e32 v0, 6, v0
	s_mov_b32 s0, exec_lo
	v_and_b32_e32 v0, 0x3800, v0
	v_or_b32_e32 v19, 0x4000, v0
	s_waitcnt lgkmcnt(0)
	global_load_dword v5, v1, s[18:19]
	s_waitcnt vmcnt(0)
	v_ashrrev_i32_e32 v6, 31, v5
	v_lshlrev_b64 v[1:2], 2, v[5:6]
	v_add_co_u32 v6, vcc_lo, s8, v1
	v_add_co_ci_u32_e64 v7, null, s9, v2, vcc_lo
	v_add_co_u32 v9, vcc_lo, s14, v1
	v_add_co_ci_u32_e64 v10, null, s15, v2, vcc_lo
	global_load_dwordx2 v[7:8], v[6:7], off
	global_load_dword v6, v[9:10], off
	s_waitcnt vmcnt(1)
	v_subrev_nc_u32_e32 v7, s2, v7
	v_subrev_nc_u32_e32 v10, s2, v8
	v_add_nc_u32_e32 v8, v7, v16
	v_cmpx_lt_i32_e64 v8, v10
	s_cbranch_execz .LBB31_36
; %bb.14:
	v_mov_b32_e32 v11, -1
	s_mov_b32 s6, 0
	s_branch .LBB31_16
.LBB31_15:                              ;   in Loop: Header=BB31_16 Depth=1
	s_or_b32 exec_lo, exec_lo, s7
	v_add_nc_u32_e32 v8, 32, v8
	v_cmp_ge_i32_e32 vcc_lo, v8, v10
	s_or_b32 s6, vcc_lo, s6
	s_andn2_b32 exec_lo, exec_lo, s6
	s_cbranch_execz .LBB31_36
.LBB31_16:                              ; =>This Loop Header: Depth=1
                                        ;     Child Loop BB31_25 Depth 2
	v_ashrrev_i32_e32 v9, 31, v8
	s_mov_b32 s7, 0
                                        ; implicit-def: $sgpr18
                                        ; implicit-def: $sgpr19
                                        ; implicit-def: $sgpr26
	v_lshlrev_b64 v[12:13], 2, v[8:9]
	v_add_co_u32 v12, vcc_lo, s10, v12
	v_add_co_ci_u32_e64 v13, null, s11, v13, vcc_lo
	global_load_dword v9, v[12:13], off
	v_mov_b32_e32 v12, 0x200
	s_waitcnt vmcnt(0)
	v_mul_lo_u32 v14, 0x67, v9
	s_branch .LBB31_25
.LBB31_17:                              ;   in Loop: Header=BB31_25 Depth=2
	s_or_b32 exec_lo, exec_lo, s37
	s_orn2_b32 s35, s35, exec_lo
	s_orn2_b32 s36, s36, exec_lo
.LBB31_18:                              ;   in Loop: Header=BB31_25 Depth=2
	s_or_b32 exec_lo, exec_lo, s34
	s_and_b32 s35, s35, exec_lo
	s_orn2_b32 s34, s36, exec_lo
.LBB31_19:                              ;   in Loop: Header=BB31_25 Depth=2
	s_or_b32 exec_lo, exec_lo, s33
	s_orn2_b32 s33, s35, exec_lo
	s_orn2_b32 s34, s34, exec_lo
.LBB31_20:                              ;   in Loop: Header=BB31_25 Depth=2
	s_or_b32 exec_lo, exec_lo, s31
	s_and_b32 s33, s33, exec_lo
	s_orn2_b32 s31, s34, exec_lo
.LBB31_21:                              ;   in Loop: Header=BB31_25 Depth=2
	s_or_b32 exec_lo, exec_lo, s30
	s_orn2_b32 s30, s33, exec_lo
	s_orn2_b32 s31, s31, exec_lo
.LBB31_22:                              ;   in Loop: Header=BB31_25 Depth=2
	s_or_b32 exec_lo, exec_lo, s29
	s_and_b32 s30, s30, exec_lo
	s_orn2_b32 s29, s31, exec_lo
.LBB31_23:                              ;   in Loop: Header=BB31_25 Depth=2
	s_or_b32 exec_lo, exec_lo, s28
	s_andn2_b32 s26, s26, exec_lo
	s_and_b32 s28, s30, exec_lo
	s_andn2_b32 s19, s19, exec_lo
	s_and_b32 s29, s29, exec_lo
	s_or_b32 s26, s26, s28
	s_or_b32 s19, s19, s29
.LBB31_24:                              ;   in Loop: Header=BB31_25 Depth=2
	s_or_b32 exec_lo, exec_lo, s27
	s_and_b32 s27, exec_lo, s19
	s_or_b32 s7, s27, s7
	s_andn2_b32 s18, s18, exec_lo
	s_and_b32 s27, s26, exec_lo
	s_or_b32 s18, s18, s27
	s_andn2_b32 exec_lo, exec_lo, s7
	s_cbranch_execz .LBB31_34
.LBB31_25:                              ;   Parent Loop BB31_16 Depth=1
                                        ; =>  This Inner Loop Header: Depth=2
	v_and_b32_e32 v13, 0x1ff, v14
	s_or_b32 s26, s26, exec_lo
	s_or_b32 s19, s19, exec_lo
	s_mov_b32 s27, exec_lo
	v_lshl_add_u32 v15, v13, 2, v19
	ds_read_b32 v20, v15
	s_waitcnt lgkmcnt(0)
	v_cmpx_ne_u32_e64 v20, v9
	s_cbranch_execz .LBB31_24
; %bb.26:                               ;   in Loop: Header=BB31_25 Depth=2
	ds_cmpst_rtn_b32 v15, v15, v11, v9
	s_mov_b32 s29, -1
	s_mov_b32 s30, 0
	s_mov_b32 s28, exec_lo
	s_waitcnt lgkmcnt(0)
	v_cmpx_ne_u32_e32 -1, v15
	s_cbranch_execz .LBB31_23
; %bb.27:                               ;   in Loop: Header=BB31_25 Depth=2
	v_add_nc_u32_e32 v13, 1, v14
	s_mov_b32 s31, -1
	s_mov_b32 s30, -1
	s_mov_b32 s29, exec_lo
	v_and_b32_e32 v13, 0x1ff, v13
	v_lshl_add_u32 v15, v13, 2, v19
	ds_read_b32 v20, v15
	s_waitcnt lgkmcnt(0)
	v_cmpx_ne_u32_e64 v20, v9
	s_cbranch_execz .LBB31_22
; %bb.28:                               ;   in Loop: Header=BB31_25 Depth=2
	ds_cmpst_rtn_b32 v15, v15, v11, v9
	s_mov_b32 s33, 0
	s_mov_b32 s30, exec_lo
	s_waitcnt lgkmcnt(0)
	v_cmpx_ne_u32_e32 -1, v15
	s_cbranch_execz .LBB31_21
; %bb.29:                               ;   in Loop: Header=BB31_25 Depth=2
	v_add_nc_u32_e32 v13, 2, v14
	s_mov_b32 s34, -1
	s_mov_b32 s33, -1
	s_mov_b32 s31, exec_lo
	v_and_b32_e32 v13, 0x1ff, v13
	v_lshl_add_u32 v15, v13, 2, v19
	ds_read_b32 v20, v15
	s_waitcnt lgkmcnt(0)
	v_cmpx_ne_u32_e64 v20, v9
	s_cbranch_execz .LBB31_20
; %bb.30:                               ;   in Loop: Header=BB31_25 Depth=2
	ds_cmpst_rtn_b32 v15, v15, v11, v9
	s_mov_b32 s35, 0
	s_mov_b32 s33, exec_lo
	s_waitcnt lgkmcnt(0)
	v_cmpx_ne_u32_e32 -1, v15
	s_cbranch_execz .LBB31_19
; %bb.31:                               ;   in Loop: Header=BB31_25 Depth=2
	v_add_nc_u32_e32 v13, 3, v14
	s_mov_b32 s36, -1
	s_mov_b32 s35, -1
	v_and_b32_e32 v13, 0x1ff, v13
	v_lshl_add_u32 v15, v13, 2, v19
	ds_read_b32 v14, v15
	s_waitcnt lgkmcnt(0)
	v_cmp_ne_u32_e32 vcc_lo, v14, v9
                                        ; implicit-def: $vgpr14
	s_and_saveexec_b32 s34, vcc_lo
	s_cbranch_execz .LBB31_18
; %bb.32:                               ;   in Loop: Header=BB31_25 Depth=2
	ds_cmpst_rtn_b32 v14, v15, v11, v9
	s_mov_b32 s35, 0
	s_waitcnt lgkmcnt(0)
	v_cmp_ne_u32_e32 vcc_lo, -1, v14
                                        ; implicit-def: $vgpr14
	s_and_saveexec_b32 s37, vcc_lo
	s_cbranch_execz .LBB31_17
; %bb.33:                               ;   in Loop: Header=BB31_25 Depth=2
	v_add_nc_u32_e32 v12, -4, v12
	v_add_nc_u32_e32 v14, 1, v13
	s_mov_b32 s35, exec_lo
	v_cmp_eq_u32_e32 vcc_lo, 0, v12
	s_orn2_b32 s36, vcc_lo, exec_lo
	s_branch .LBB31_17
.LBB31_34:                              ;   in Loop: Header=BB31_16 Depth=1
	s_or_b32 exec_lo, exec_lo, s7
	s_xor_b32 s7, s18, -1
	s_and_saveexec_b32 s18, s7
	s_xor_b32 s7, exec_lo, s18
	s_cbranch_execz .LBB31_15
; %bb.35:                               ;   in Loop: Header=BB31_16 Depth=1
	v_lshl_add_u32 v9, v13, 2, v0
	ds_write_b32 v9, v8
	s_branch .LBB31_15
.LBB31_36:
	s_or_b32 exec_lo, exec_lo, s0
	s_mov_b32 s6, exec_lo
	s_waitcnt vmcnt(0) lgkmcnt(0)
	buffer_gl0_inv
	v_cmpx_lt_i32_e64 v7, v6
	s_cbranch_execz .LBB31_66
; %bb.37:
	v_add_nc_u32_e32 v20, 1, v16
	s_mov_b32 s7, 0
	s_branch .LBB31_40
.LBB31_38:                              ;   in Loop: Header=BB31_40 Depth=1
	s_or_b32 exec_lo, exec_lo, s18
	v_add_nc_u32_e32 v7, 1, v7
	v_cmp_ge_i32_e32 vcc_lo, v7, v6
	s_orn2_b32 s18, vcc_lo, exec_lo
.LBB31_39:                              ;   in Loop: Header=BB31_40 Depth=1
	s_or_b32 exec_lo, exec_lo, s0
	s_and_b32 s0, exec_lo, s18
	s_or_b32 s7, s0, s7
	s_andn2_b32 exec_lo, exec_lo, s7
	s_cbranch_execz .LBB31_66
.LBB31_40:                              ; =>This Loop Header: Depth=1
                                        ;     Child Loop BB31_41 Depth 2
                                        ;     Child Loop BB31_46 Depth 2
                                        ;       Child Loop BB31_55 Depth 3
	v_ashrrev_i32_e32 v8, 31, v7
	s_mov_b32 s0, 0
	v_lshlrev_b64 v[9:10], 2, v[7:8]
	v_lshlrev_b64 v[12:13], 3, v[7:8]
	v_add_co_u32 v9, vcc_lo, s10, v9
	v_add_co_ci_u32_e64 v10, null, s11, v10, vcc_lo
	v_add_co_u32 v12, vcc_lo, s12, v12
	v_add_co_ci_u32_e64 v13, null, s13, v13, vcc_lo
	global_load_dword v9, v[9:10], off
	s_waitcnt vmcnt(0)
	v_subrev_nc_u32_e32 v9, s2, v9
	v_ashrrev_i32_e32 v10, 31, v9
	v_lshlrev_b64 v[10:11], 2, v[9:10]
	v_add_co_u32 v14, vcc_lo, s8, v10
	v_add_co_ci_u32_e64 v15, null, s9, v11, vcc_lo
	v_add_co_u32 v21, vcc_lo, s14, v10
	v_add_co_ci_u32_e64 v22, null, s15, v11, vcc_lo
	global_load_dwordx2 v[8:9], v[12:13], off
	global_load_dword v14, v[14:15], off offset:4
	global_load_dword v15, v[21:22], off
	v_add_co_u32 v10, vcc_lo, s16, v10
	v_add_co_ci_u32_e64 v11, null, s17, v11, vcc_lo
.LBB31_41:                              ;   Parent Loop BB31_40 Depth=1
                                        ; =>  This Inner Loop Header: Depth=2
	global_load_dword v21, v[10:11], off glc dlc
	s_waitcnt vmcnt(0)
	v_cmp_ne_u32_e32 vcc_lo, 0, v21
	s_or_b32 s0, vcc_lo, s0
	s_andn2_b32 exec_lo, exec_lo, s0
	s_cbranch_execnz .LBB31_41
; %bb.42:                               ;   in Loop: Header=BB31_40 Depth=1
	s_or_b32 exec_lo, exec_lo, s0
	v_subrev_nc_u32_e32 v21, s2, v14
	v_cmp_eq_u32_e32 vcc_lo, -1, v15
	buffer_gl1_inv
	buffer_gl0_inv
	s_mov_b32 s18, -1
	v_add_nc_u32_e32 v10, -1, v21
	v_cndmask_b32_e32 v10, v15, v10, vcc_lo
	v_ashrrev_i32_e32 v11, 31, v10
	v_lshlrev_b64 v[14:15], 3, v[10:11]
	v_add_co_u32 v14, vcc_lo, s12, v14
	v_add_co_ci_u32_e64 v15, null, s13, v15, vcc_lo
	global_load_dwordx2 v[14:15], v[14:15], off
	s_waitcnt vmcnt(0)
	v_cmp_neq_f32_e32 vcc_lo, 0, v14
	v_cmp_neq_f32_e64 s0, 0, v15
	s_or_b32 s19, vcc_lo, s0
	s_and_saveexec_b32 s0, s19
	s_cbranch_execz .LBB31_39
; %bb.43:                               ;   in Loop: Header=BB31_40 Depth=1
	v_mul_f32_e32 v11, v15, v15
	s_mov_b32 s18, exec_lo
	v_fmac_f32_e32 v11, v14, v14
	v_div_scale_f32 v22, null, v11, v11, 1.0
	v_div_scale_f32 v25, vcc_lo, 1.0, v11, 1.0
	v_rcp_f32_e32 v23, v22
	v_fma_f32 v24, -v22, v23, 1.0
	v_fmac_f32_e32 v23, v24, v23
	v_mul_f32_e32 v24, v25, v23
	v_fma_f32 v26, -v22, v24, v25
	v_fmac_f32_e32 v24, v26, v23
	v_fma_f32 v22, -v22, v24, v25
	v_mul_f32_e32 v25, v9, v15
	v_mul_f32_e64 v15, v15, -v8
	v_div_fmas_f32 v22, v22, v23, v24
	v_fmac_f32_e32 v25, v8, v14
	v_fmac_f32_e32 v15, v9, v14
	v_add_nc_u32_e32 v8, v20, v10
	v_div_fixup_f32 v11, v22, v11, 1.0
	v_mul_f32_e32 v10, v25, v11
	v_mul_f32_e32 v11, v15, v11
	global_store_dwordx2 v[12:13], v[10:11], off
	v_cmpx_lt_i32_e64 v8, v21
	s_cbranch_execz .LBB31_38
; %bb.44:                               ;   in Loop: Header=BB31_40 Depth=1
	s_mov_b32 s19, 0
	s_branch .LBB31_46
.LBB31_45:                              ;   in Loop: Header=BB31_46 Depth=2
	s_or_b32 exec_lo, exec_lo, s26
	v_add_nc_u32_e32 v8, 32, v8
	v_cmp_ge_i32_e32 vcc_lo, v8, v21
	s_or_b32 s19, vcc_lo, s19
	s_andn2_b32 exec_lo, exec_lo, s19
	s_cbranch_execz .LBB31_38
.LBB31_46:                              ;   Parent Loop BB31_40 Depth=1
                                        ; =>  This Loop Header: Depth=2
                                        ;       Child Loop BB31_55 Depth 3
	v_ashrrev_i32_e32 v9, 31, v8
	s_mov_b32 s26, 0
                                        ; implicit-def: $sgpr27
                                        ; implicit-def: $sgpr28
                                        ; implicit-def: $sgpr29
	v_lshlrev_b64 v[12:13], 2, v[8:9]
	v_add_co_u32 v12, vcc_lo, s10, v12
	v_add_co_ci_u32_e64 v13, null, s11, v13, vcc_lo
	global_load_dword v12, v[12:13], off
	v_mov_b32_e32 v13, 0x200
	s_waitcnt vmcnt(0)
	v_mul_lo_u32 v15, 0x67, v12
	s_branch .LBB31_55
.LBB31_47:                              ;   in Loop: Header=BB31_55 Depth=3
	s_or_b32 exec_lo, exec_lo, s40
	s_orn2_b32 s38, s38, exec_lo
	s_orn2_b32 s39, s39, exec_lo
.LBB31_48:                              ;   in Loop: Header=BB31_55 Depth=3
	s_or_b32 exec_lo, exec_lo, s37
	s_and_b32 s38, s38, exec_lo
	s_orn2_b32 s37, s39, exec_lo
.LBB31_49:                              ;   in Loop: Header=BB31_55 Depth=3
	s_or_b32 exec_lo, exec_lo, s36
	s_orn2_b32 s36, s38, exec_lo
	s_orn2_b32 s37, s37, exec_lo
.LBB31_50:                              ;   in Loop: Header=BB31_55 Depth=3
	s_or_b32 exec_lo, exec_lo, s35
	s_and_b32 s36, s36, exec_lo
	s_orn2_b32 s35, s37, exec_lo
.LBB31_51:                              ;   in Loop: Header=BB31_55 Depth=3
	s_or_b32 exec_lo, exec_lo, s34
	s_orn2_b32 s34, s36, exec_lo
	s_orn2_b32 s35, s35, exec_lo
.LBB31_52:                              ;   in Loop: Header=BB31_55 Depth=3
	s_or_b32 exec_lo, exec_lo, s33
	s_and_b32 s34, s34, exec_lo
	s_orn2_b32 s33, s35, exec_lo
.LBB31_53:                              ;   in Loop: Header=BB31_55 Depth=3
	s_or_b32 exec_lo, exec_lo, s31
	s_andn2_b32 s29, s29, exec_lo
	s_and_b32 s31, s34, exec_lo
	s_andn2_b32 s28, s28, exec_lo
	s_and_b32 s33, s33, exec_lo
	s_or_b32 s29, s29, s31
	s_or_b32 s28, s28, s33
.LBB31_54:                              ;   in Loop: Header=BB31_55 Depth=3
	s_or_b32 exec_lo, exec_lo, s30
	s_and_b32 s30, exec_lo, s28
	s_or_b32 s26, s30, s26
	s_andn2_b32 s27, s27, exec_lo
	s_and_b32 s30, s29, exec_lo
	s_or_b32 s27, s27, s30
	s_andn2_b32 exec_lo, exec_lo, s26
	s_cbranch_execz .LBB31_64
.LBB31_55:                              ;   Parent Loop BB31_40 Depth=1
                                        ;     Parent Loop BB31_46 Depth=2
                                        ; =>    This Inner Loop Header: Depth=3
	v_and_b32_e32 v14, 0x1ff, v15
	s_or_b32 s29, s29, exec_lo
	s_or_b32 s28, s28, exec_lo
	s_mov_b32 s30, exec_lo
	v_lshl_add_u32 v22, v14, 2, v19
	ds_read_b32 v22, v22
	s_waitcnt lgkmcnt(0)
	v_cmpx_ne_u32_e32 -1, v22
	s_cbranch_execz .LBB31_54
; %bb.56:                               ;   in Loop: Header=BB31_55 Depth=3
	s_mov_b32 s33, -1
	s_mov_b32 s34, 0
	s_mov_b32 s31, exec_lo
	v_cmpx_ne_u32_e64 v22, v12
	s_cbranch_execz .LBB31_53
; %bb.57:                               ;   in Loop: Header=BB31_55 Depth=3
	v_add_nc_u32_e32 v14, 1, v15
	s_mov_b32 s35, -1
	s_mov_b32 s34, -1
	s_mov_b32 s33, exec_lo
	v_and_b32_e32 v14, 0x1ff, v14
	v_lshl_add_u32 v22, v14, 2, v19
	ds_read_b32 v22, v22
	s_waitcnt lgkmcnt(0)
	v_cmpx_ne_u32_e32 -1, v22
	s_cbranch_execz .LBB31_52
; %bb.58:                               ;   in Loop: Header=BB31_55 Depth=3
	s_mov_b32 s36, 0
	s_mov_b32 s34, exec_lo
	v_cmpx_ne_u32_e64 v22, v12
	s_cbranch_execz .LBB31_51
; %bb.59:                               ;   in Loop: Header=BB31_55 Depth=3
	v_add_nc_u32_e32 v14, 2, v15
	s_mov_b32 s37, -1
	s_mov_b32 s36, -1
	s_mov_b32 s35, exec_lo
	v_and_b32_e32 v14, 0x1ff, v14
	v_lshl_add_u32 v22, v14, 2, v19
	ds_read_b32 v22, v22
	s_waitcnt lgkmcnt(0)
	v_cmpx_ne_u32_e32 -1, v22
	s_cbranch_execz .LBB31_50
; %bb.60:                               ;   in Loop: Header=BB31_55 Depth=3
	s_mov_b32 s38, 0
	s_mov_b32 s36, exec_lo
	v_cmpx_ne_u32_e64 v22, v12
	s_cbranch_execz .LBB31_49
; %bb.61:                               ;   in Loop: Header=BB31_55 Depth=3
	v_add_nc_u32_e32 v14, 3, v15
	s_mov_b32 s39, -1
	s_mov_b32 s38, -1
	s_mov_b32 s37, exec_lo
	v_and_b32_e32 v14, 0x1ff, v14
	v_lshl_add_u32 v15, v14, 2, v19
	ds_read_b32 v22, v15
                                        ; implicit-def: $vgpr15
	s_waitcnt lgkmcnt(0)
	v_cmpx_ne_u32_e32 -1, v22
	s_cbranch_execz .LBB31_48
; %bb.62:                               ;   in Loop: Header=BB31_55 Depth=3
	s_mov_b32 s38, 0
	s_mov_b32 s40, exec_lo
                                        ; implicit-def: $vgpr15
	v_cmpx_ne_u32_e64 v22, v12
	s_cbranch_execz .LBB31_47
; %bb.63:                               ;   in Loop: Header=BB31_55 Depth=3
	v_add_nc_u32_e32 v13, -4, v13
	v_add_nc_u32_e32 v15, 1, v14
	s_mov_b32 s38, exec_lo
	v_cmp_eq_u32_e32 vcc_lo, 0, v13
	s_orn2_b32 s39, vcc_lo, exec_lo
	s_branch .LBB31_47
.LBB31_64:                              ;   in Loop: Header=BB31_46 Depth=2
	s_or_b32 exec_lo, exec_lo, s26
	s_xor_b32 s26, s27, -1
	s_and_saveexec_b32 s27, s26
	s_xor_b32 s26, exec_lo, s27
	s_cbranch_execz .LBB31_45
; %bb.65:                               ;   in Loop: Header=BB31_46 Depth=2
	v_lshl_add_u32 v12, v14, 2, v0
	v_lshlrev_b64 v[14:15], 3, v[8:9]
	ds_read_b32 v12, v12
	v_add_co_u32 v14, vcc_lo, s12, v14
	v_add_co_ci_u32_e64 v15, null, s13, v15, vcc_lo
	s_waitcnt lgkmcnt(0)
	v_ashrrev_i32_e32 v13, 31, v12
	v_lshlrev_b64 v[12:13], 3, v[12:13]
	v_add_co_u32 v12, vcc_lo, s12, v12
	v_add_co_ci_u32_e64 v13, null, s13, v13, vcc_lo
	s_clause 0x1
	global_load_dwordx2 v[14:15], v[14:15], off
	global_load_dwordx2 v[22:23], v[12:13], off
	s_waitcnt vmcnt(0)
	v_fma_f32 v22, -v10, v14, v22
	v_fma_f32 v9, -v11, v14, v23
	v_fmac_f32_e32 v22, v11, v15
	v_fma_f32 v23, -v10, v15, v9
	global_store_dwordx2 v[12:13], v[22:23], off
	s_branch .LBB31_45
.LBB31_66:
	s_or_b32 exec_lo, exec_lo, s6
	s_mov_b32 s6, exec_lo
	s_waitcnt_vscnt null, 0x0
	buffer_gl0_inv
	v_cmpx_lt_i32_e32 -1, v6
	s_cbranch_execz .LBB31_88
; %bb.67:
	v_mov_b32_e32 v7, 0
	s_mov_b32 s0, exec_lo
	v_lshlrev_b64 v[8:9], 3, v[6:7]
	v_add_co_u32 v10, vcc_lo, s12, v8
	v_add_co_ci_u32_e64 v11, null, s13, v9, vcc_lo
	global_load_dwordx2 v[8:9], v[10:11], off
	s_waitcnt vmcnt(0)
	v_cmp_gt_f32_e32 vcc_lo, 0, v8
	v_cndmask_b32_e64 v0, v8, -v8, vcc_lo
	v_cmp_gt_f32_e32 vcc_lo, 0, v9
	v_cndmask_b32_e64 v6, v9, -v9, vcc_lo
	v_cmpx_ngt_f32_e32 v0, v6
	s_xor_b32 s7, exec_lo, s0
	s_cbranch_execz .LBB31_71
; %bb.68:
	s_mov_b32 s8, exec_lo
	v_cmpx_neq_f32_e32 0, v9
	s_cbranch_execz .LBB31_70
; %bb.69:
	v_div_scale_f32 v7, null, v6, v6, v0
	v_div_scale_f32 v14, vcc_lo, v0, v6, v0
	v_rcp_f32_e32 v12, v7
	v_fma_f32 v13, -v7, v12, 1.0
	v_fmac_f32_e32 v12, v13, v12
	v_mul_f32_e32 v13, v14, v12
	v_fma_f32 v15, -v7, v13, v14
	v_fmac_f32_e32 v13, v15, v12
	v_fma_f32 v7, -v7, v13, v14
	v_div_fmas_f32 v7, v7, v12, v13
	v_div_fixup_f32 v0, v7, v6, v0
	v_fma_f32 v0, v0, v0, 1.0
	v_mul_f32_e32 v7, 0x4f800000, v0
	v_cmp_gt_f32_e32 vcc_lo, 0xf800000, v0
	v_cndmask_b32_e32 v0, v0, v7, vcc_lo
	v_sqrt_f32_e32 v7, v0
	v_add_nc_u32_e32 v12, -1, v7
	v_add_nc_u32_e32 v13, 1, v7
	v_fma_f32 v14, -v12, v7, v0
	v_fma_f32 v15, -v13, v7, v0
	v_cmp_ge_f32_e64 s0, 0, v14
	v_cndmask_b32_e64 v7, v7, v12, s0
	v_cmp_lt_f32_e64 s0, 0, v15
	v_cndmask_b32_e64 v7, v7, v13, s0
	v_mul_f32_e32 v12, 0x37800000, v7
	v_cndmask_b32_e32 v7, v7, v12, vcc_lo
	v_cmp_class_f32_e64 vcc_lo, v0, 0x260
	v_cndmask_b32_e32 v0, v7, v0, vcc_lo
	v_mul_f32_e32 v7, v6, v0
.LBB31_70:
	s_or_b32 exec_lo, exec_lo, s8
                                        ; implicit-def: $vgpr0
                                        ; implicit-def: $vgpr6
.LBB31_71:
	s_andn2_saveexec_b32 s7, s7
	s_cbranch_execz .LBB31_73
; %bb.72:
	v_div_scale_f32 v7, null, v0, v0, v6
	v_div_scale_f32 v14, vcc_lo, v6, v0, v6
	v_rcp_f32_e32 v12, v7
	v_fma_f32 v13, -v7, v12, 1.0
	v_fmac_f32_e32 v12, v13, v12
	v_mul_f32_e32 v13, v14, v12
	v_fma_f32 v15, -v7, v13, v14
	v_fmac_f32_e32 v13, v15, v12
	v_fma_f32 v7, -v7, v13, v14
	v_div_fmas_f32 v7, v7, v12, v13
	v_div_fixup_f32 v6, v7, v0, v6
	v_fma_f32 v6, v6, v6, 1.0
	v_mul_f32_e32 v7, 0x4f800000, v6
	v_cmp_gt_f32_e32 vcc_lo, 0xf800000, v6
	v_cndmask_b32_e32 v6, v6, v7, vcc_lo
	v_sqrt_f32_e32 v7, v6
	v_add_nc_u32_e32 v12, -1, v7
	v_add_nc_u32_e32 v13, 1, v7
	v_fma_f32 v14, -v12, v7, v6
	v_fma_f32 v15, -v13, v7, v6
	v_cmp_ge_f32_e64 s0, 0, v14
	v_cndmask_b32_e64 v7, v7, v12, s0
	v_cmp_lt_f32_e64 s0, 0, v15
	v_cndmask_b32_e64 v7, v7, v13, s0
	v_mul_f32_e32 v12, 0x37800000, v7
	v_cndmask_b32_e32 v7, v7, v12, vcc_lo
	v_cmp_class_f32_e64 vcc_lo, v6, 0x260
	v_cndmask_b32_e32 v6, v7, v6, vcc_lo
	v_mul_f32_e32 v7, v0, v6
.LBB31_73:
	s_or_b32 exec_lo, exec_lo, s7
	v_cvt_f64_f32_e32 v[6:7], v7
	v_cmp_ne_u32_e32 vcc_lo, 1, v18
	v_cmp_eq_u32_e64 s0, 0, v16
	s_mov_b32 s7, -1
	s_cbranch_vccnz .LBB31_77
; %bb.74:
	v_cvt_f64_f32_e32 v[12:13], v17
	s_cmp_eq_u64 s[24:25], 8
	s_cselect_b32 vcc_lo, -1, 0
	v_cndmask_b32_e32 v4, v13, v4, vcc_lo
	v_cndmask_b32_e32 v3, v12, v3, vcc_lo
	v_cmp_ge_f64_e32 vcc_lo, v[3:4], v[6:7]
	s_and_b32 s8, s0, vcc_lo
	s_and_saveexec_b32 s7, s8
	s_cbranch_execz .LBB31_76
; %bb.75:
	v_mov_b32_e32 v3, s1
	v_mov_b32_e32 v4, s3
	global_store_dwordx2 v[10:11], v[3:4], off
	s_waitcnt_vscnt null, 0x0
	buffer_gl1_inv
	buffer_gl0_inv
.LBB31_76:
	s_or_b32 exec_lo, exec_lo, s7
	s_mov_b32 s7, 0
.LBB31_77:
	s_andn2_b32 vcc_lo, exec_lo, s7
	s_cbranch_vccnz .LBB31_88
; %bb.78:
	s_load_dwordx2 s[4:5], s[4:5], 0x48
	v_add_nc_u32_e32 v0, s2, v5
	s_waitcnt lgkmcnt(0)
	v_cmp_ge_f64_e32 vcc_lo, s[4:5], v[6:7]
	s_and_b32 s2, s0, vcc_lo
	s_and_saveexec_b32 s1, s2
	s_cbranch_execz .LBB31_83
; %bb.79:
	s_mov_b32 s3, exec_lo
	s_brev_b32 s2, -2
.LBB31_80:                              ; =>This Inner Loop Header: Depth=1
	s_ff1_i32_b32 s4, s3
	v_readlane_b32 s5, v0, s4
	s_lshl_b32 s4, 1, s4
	s_andn2_b32 s3, s3, s4
	s_min_i32 s2, s2, s5
	s_cmp_lg_u32 s3, 0
	s_cbranch_scc1 .LBB31_80
; %bb.81:
	v_mbcnt_lo_u32_b32 v3, exec_lo, 0
	s_mov_b32 s3, exec_lo
	v_cmpx_eq_u32_e32 0, v3
	s_xor_b32 s3, exec_lo, s3
	s_cbranch_execz .LBB31_83
; %bb.82:
	v_mov_b32_e32 v3, 0
	v_mov_b32_e32 v4, s2
	global_atomic_smin v3, v4, s[22:23]
.LBB31_83:
	s_or_b32 exec_lo, exec_lo, s1
	v_cmp_eq_f32_e32 vcc_lo, 0, v8
	v_cmp_eq_f32_e64 s1, 0, v9
	s_and_b32 s1, vcc_lo, s1
	s_and_b32 s0, s0, s1
	s_and_b32 exec_lo, exec_lo, s0
	s_cbranch_execz .LBB31_88
; %bb.84:
	s_mov_b32 s1, exec_lo
	s_brev_b32 s0, -2
.LBB31_85:                              ; =>This Inner Loop Header: Depth=1
	s_ff1_i32_b32 s2, s1
	v_readlane_b32 s3, v0, s2
	s_lshl_b32 s2, 1, s2
	s_andn2_b32 s1, s1, s2
	s_min_i32 s0, s0, s3
	s_cmp_lg_u32 s1, 0
	s_cbranch_scc1 .LBB31_85
; %bb.86:
	v_mbcnt_lo_u32_b32 v0, exec_lo, 0
	s_mov_b32 s1, exec_lo
	v_cmpx_eq_u32_e32 0, v0
	s_xor_b32 s1, exec_lo, s1
	s_cbranch_execz .LBB31_88
; %bb.87:
	v_mov_b32_e32 v0, 0
	v_mov_b32_e32 v3, s0
	global_atomic_smin v0, v3, s[20:21]
.LBB31_88:
	s_or_b32 exec_lo, exec_lo, s6
	v_cmp_eq_u32_e32 vcc_lo, 0, v16
	s_waitcnt_vscnt null, 0x0
	buffer_gl1_inv
	buffer_gl0_inv
	s_and_b32 exec_lo, exec_lo, vcc_lo
	s_cbranch_execz .LBB31_90
; %bb.89:
	v_add_co_u32 v0, vcc_lo, s16, v1
	v_add_co_ci_u32_e64 v1, null, s17, v2, vcc_lo
	v_mov_b32_e32 v2, 1
	global_store_dword v[0:1], v2, off
.LBB31_90:
	s_endpgm
	.section	.rodata,"a",@progbits
	.p2align	6, 0x0
	.amdhsa_kernel _ZN9rocsparseL12csrilu0_hashILj256ELj32ELj16E21rocsparse_complex_numIfEEEviPKiS4_PT2_S4_PiS4_S7_S7_d21rocsparse_index_base_imNS_24const_host_device_scalarIfEENS9_IdEENS9_IS5_EEb
		.amdhsa_group_segment_fixed_size 32768
		.amdhsa_private_segment_fixed_size 0
		.amdhsa_kernarg_size 124
		.amdhsa_user_sgpr_count 6
		.amdhsa_user_sgpr_private_segment_buffer 1
		.amdhsa_user_sgpr_dispatch_ptr 0
		.amdhsa_user_sgpr_queue_ptr 0
		.amdhsa_user_sgpr_kernarg_segment_ptr 1
		.amdhsa_user_sgpr_dispatch_id 0
		.amdhsa_user_sgpr_flat_scratch_init 0
		.amdhsa_user_sgpr_private_segment_size 0
		.amdhsa_wavefront_size32 1
		.amdhsa_uses_dynamic_stack 0
		.amdhsa_system_sgpr_private_segment_wavefront_offset 0
		.amdhsa_system_sgpr_workgroup_id_x 1
		.amdhsa_system_sgpr_workgroup_id_y 0
		.amdhsa_system_sgpr_workgroup_id_z 0
		.amdhsa_system_sgpr_workgroup_info 0
		.amdhsa_system_vgpr_workitem_id 0
		.amdhsa_next_free_vgpr 113
		.amdhsa_next_free_sgpr 41
		.amdhsa_reserve_vcc 1
		.amdhsa_reserve_flat_scratch 0
		.amdhsa_float_round_mode_32 0
		.amdhsa_float_round_mode_16_64 0
		.amdhsa_float_denorm_mode_32 3
		.amdhsa_float_denorm_mode_16_64 3
		.amdhsa_dx10_clamp 1
		.amdhsa_ieee_mode 1
		.amdhsa_fp16_overflow 0
		.amdhsa_workgroup_processor_mode 1
		.amdhsa_memory_ordered 1
		.amdhsa_forward_progress 1
		.amdhsa_shared_vgpr_count 0
		.amdhsa_exception_fp_ieee_invalid_op 0
		.amdhsa_exception_fp_denorm_src 0
		.amdhsa_exception_fp_ieee_div_zero 0
		.amdhsa_exception_fp_ieee_overflow 0
		.amdhsa_exception_fp_ieee_underflow 0
		.amdhsa_exception_fp_ieee_inexact 0
		.amdhsa_exception_int_div_zero 0
	.end_amdhsa_kernel
	.section	.text._ZN9rocsparseL12csrilu0_hashILj256ELj32ELj16E21rocsparse_complex_numIfEEEviPKiS4_PT2_S4_PiS4_S7_S7_d21rocsparse_index_base_imNS_24const_host_device_scalarIfEENS9_IdEENS9_IS5_EEb,"axG",@progbits,_ZN9rocsparseL12csrilu0_hashILj256ELj32ELj16E21rocsparse_complex_numIfEEEviPKiS4_PT2_S4_PiS4_S7_S7_d21rocsparse_index_base_imNS_24const_host_device_scalarIfEENS9_IdEENS9_IS5_EEb,comdat
.Lfunc_end31:
	.size	_ZN9rocsparseL12csrilu0_hashILj256ELj32ELj16E21rocsparse_complex_numIfEEEviPKiS4_PT2_S4_PiS4_S7_S7_d21rocsparse_index_base_imNS_24const_host_device_scalarIfEENS9_IdEENS9_IS5_EEb, .Lfunc_end31-_ZN9rocsparseL12csrilu0_hashILj256ELj32ELj16E21rocsparse_complex_numIfEEEviPKiS4_PT2_S4_PiS4_S7_S7_d21rocsparse_index_base_imNS_24const_host_device_scalarIfEENS9_IdEENS9_IS5_EEb
                                        ; -- End function
	.set _ZN9rocsparseL12csrilu0_hashILj256ELj32ELj16E21rocsparse_complex_numIfEEEviPKiS4_PT2_S4_PiS4_S7_S7_d21rocsparse_index_base_imNS_24const_host_device_scalarIfEENS9_IdEENS9_IS5_EEb.num_vgpr, 27
	.set _ZN9rocsparseL12csrilu0_hashILj256ELj32ELj16E21rocsparse_complex_numIfEEEviPKiS4_PT2_S4_PiS4_S7_S7_d21rocsparse_index_base_imNS_24const_host_device_scalarIfEENS9_IdEENS9_IS5_EEb.num_agpr, 0
	.set _ZN9rocsparseL12csrilu0_hashILj256ELj32ELj16E21rocsparse_complex_numIfEEEviPKiS4_PT2_S4_PiS4_S7_S7_d21rocsparse_index_base_imNS_24const_host_device_scalarIfEENS9_IdEENS9_IS5_EEb.numbered_sgpr, 41
	.set _ZN9rocsparseL12csrilu0_hashILj256ELj32ELj16E21rocsparse_complex_numIfEEEviPKiS4_PT2_S4_PiS4_S7_S7_d21rocsparse_index_base_imNS_24const_host_device_scalarIfEENS9_IdEENS9_IS5_EEb.num_named_barrier, 0
	.set _ZN9rocsparseL12csrilu0_hashILj256ELj32ELj16E21rocsparse_complex_numIfEEEviPKiS4_PT2_S4_PiS4_S7_S7_d21rocsparse_index_base_imNS_24const_host_device_scalarIfEENS9_IdEENS9_IS5_EEb.private_seg_size, 0
	.set _ZN9rocsparseL12csrilu0_hashILj256ELj32ELj16E21rocsparse_complex_numIfEEEviPKiS4_PT2_S4_PiS4_S7_S7_d21rocsparse_index_base_imNS_24const_host_device_scalarIfEENS9_IdEENS9_IS5_EEb.uses_vcc, 1
	.set _ZN9rocsparseL12csrilu0_hashILj256ELj32ELj16E21rocsparse_complex_numIfEEEviPKiS4_PT2_S4_PiS4_S7_S7_d21rocsparse_index_base_imNS_24const_host_device_scalarIfEENS9_IdEENS9_IS5_EEb.uses_flat_scratch, 0
	.set _ZN9rocsparseL12csrilu0_hashILj256ELj32ELj16E21rocsparse_complex_numIfEEEviPKiS4_PT2_S4_PiS4_S7_S7_d21rocsparse_index_base_imNS_24const_host_device_scalarIfEENS9_IdEENS9_IS5_EEb.has_dyn_sized_stack, 0
	.set _ZN9rocsparseL12csrilu0_hashILj256ELj32ELj16E21rocsparse_complex_numIfEEEviPKiS4_PT2_S4_PiS4_S7_S7_d21rocsparse_index_base_imNS_24const_host_device_scalarIfEENS9_IdEENS9_IS5_EEb.has_recursion, 0
	.set _ZN9rocsparseL12csrilu0_hashILj256ELj32ELj16E21rocsparse_complex_numIfEEEviPKiS4_PT2_S4_PiS4_S7_S7_d21rocsparse_index_base_imNS_24const_host_device_scalarIfEENS9_IdEENS9_IS5_EEb.has_indirect_call, 0
	.section	.AMDGPU.csdata,"",@progbits
; Kernel info:
; codeLenInByte = 3280
; TotalNumSgprs: 43
; NumVgprs: 27
; ScratchSize: 0
; MemoryBound: 0
; FloatMode: 240
; IeeeMode: 1
; LDSByteSize: 32768 bytes/workgroup (compile time only)
; SGPRBlocks: 0
; VGPRBlocks: 14
; NumSGPRsForWavesPerEU: 43
; NumVGPRsForWavesPerEU: 113
; Occupancy: 8
; WaveLimiterHint : 1
; COMPUTE_PGM_RSRC2:SCRATCH_EN: 0
; COMPUTE_PGM_RSRC2:USER_SGPR: 6
; COMPUTE_PGM_RSRC2:TRAP_HANDLER: 0
; COMPUTE_PGM_RSRC2:TGID_X_EN: 1
; COMPUTE_PGM_RSRC2:TGID_Y_EN: 0
; COMPUTE_PGM_RSRC2:TGID_Z_EN: 0
; COMPUTE_PGM_RSRC2:TIDIG_COMP_CNT: 0
	.section	.text._ZN9rocsparseL17csrilu0_binsearchILj256ELj32ELb0E21rocsparse_complex_numIfEEEviPKiS4_PT2_S4_PiS4_S7_S7_d21rocsparse_index_base_imNS_24const_host_device_scalarIfEENS9_IdEENS9_IS5_EEb,"axG",@progbits,_ZN9rocsparseL17csrilu0_binsearchILj256ELj32ELb0E21rocsparse_complex_numIfEEEviPKiS4_PT2_S4_PiS4_S7_S7_d21rocsparse_index_base_imNS_24const_host_device_scalarIfEENS9_IdEENS9_IS5_EEb,comdat
	.globl	_ZN9rocsparseL17csrilu0_binsearchILj256ELj32ELb0E21rocsparse_complex_numIfEEEviPKiS4_PT2_S4_PiS4_S7_S7_d21rocsparse_index_base_imNS_24const_host_device_scalarIfEENS9_IdEENS9_IS5_EEb ; -- Begin function _ZN9rocsparseL17csrilu0_binsearchILj256ELj32ELb0E21rocsparse_complex_numIfEEEviPKiS4_PT2_S4_PiS4_S7_S7_d21rocsparse_index_base_imNS_24const_host_device_scalarIfEENS9_IdEENS9_IS5_EEb
	.p2align	8
	.type	_ZN9rocsparseL17csrilu0_binsearchILj256ELj32ELb0E21rocsparse_complex_numIfEEEviPKiS4_PT2_S4_PiS4_S7_S7_d21rocsparse_index_base_imNS_24const_host_device_scalarIfEENS9_IdEENS9_IS5_EEb,@function
_ZN9rocsparseL17csrilu0_binsearchILj256ELj32ELb0E21rocsparse_complex_numIfEEEviPKiS4_PT2_S4_PiS4_S7_S7_d21rocsparse_index_base_imNS_24const_host_device_scalarIfEENS9_IdEENS9_IS5_EEb: ; @_ZN9rocsparseL17csrilu0_binsearchILj256ELj32ELb0E21rocsparse_complex_numIfEEEviPKiS4_PT2_S4_PiS4_S7_S7_d21rocsparse_index_base_imNS_24const_host_device_scalarIfEENS9_IdEENS9_IS5_EEb
; %bb.0:
	s_clause 0x2
	s_load_dword s0, s[4:5], 0x78
	s_load_dwordx2 s[2:3], s[4:5], 0x50
	s_load_dwordx8 s[24:31], s[4:5], 0x58
	s_waitcnt lgkmcnt(0)
	s_bitcmp1_b32 s0, 0
	s_cselect_b32 s7, -1, 0
	s_cmp_eq_u32 s3, 0
	s_cselect_b32 s9, -1, 0
	s_cmp_lg_u32 s3, 0
	s_cselect_b32 s3, -1, 0
	s_or_b32 s10, s9, s7
	s_xor_b32 s8, s10, -1
	s_and_b32 s0, s9, exec_lo
	s_cselect_b32 s1, 0, s29
	s_cselect_b32 s0, 0, s28
	s_and_b32 vcc_lo, exec_lo, s10
	s_cbranch_vccnz .LBB32_2
; %bb.1:
	s_load_dword s0, s[26:27], 0x0
	s_waitcnt lgkmcnt(0)
	v_mov_b32_e32 v16, s0
	s_mov_b64 s[0:1], s[28:29]
	v_mov_b32_e32 v4, s1
	v_mov_b32_e32 v3, s0
	s_andn2_b32 vcc_lo, exec_lo, s8
	s_cbranch_vccz .LBB32_3
	s_branch .LBB32_4
.LBB32_2:
	v_cndmask_b32_e64 v16, s26, 0, s9
	v_mov_b32_e32 v4, s1
	v_mov_b32_e32 v3, s0
	s_andn2_b32 vcc_lo, exec_lo, s8
	s_cbranch_vccnz .LBB32_4
.LBB32_3:
	v_mov_b32_e32 v1, s28
	v_mov_b32_e32 v2, s29
	flat_load_dwordx2 v[3:4], v[1:2]
.LBB32_4:
	v_cndmask_b32_e64 v17, 0, 1, s3
	s_mov_b32 s1, 0
	s_andn2_b32 vcc_lo, exec_lo, s3
	s_mov_b32 s3, 0
	s_cbranch_vccnz .LBB32_10
; %bb.5:
	s_xor_b32 s0, s7, -1
	s_mov_b32 s1, s30
	v_cndmask_b32_e64 v1, 0, 1, s0
	s_andn2_b32 vcc_lo, exec_lo, s0
	s_cbranch_vccnz .LBB32_7
; %bb.6:
	s_load_dword s1, s[30:31], 0x0
.LBB32_7:
	v_cmp_ne_u32_e32 vcc_lo, 1, v1
	s_cbranch_vccnz .LBB32_9
; %bb.8:
	s_load_dword s31, s[30:31], 0x4
.LBB32_9:
	s_waitcnt lgkmcnt(0)
	s_mov_b32 s3, s31
.LBB32_10:
	s_load_dword s0, s[4:5], 0x0
	v_lshrrev_b32_e32 v1, 5, v0
	s_lshl_b32 s6, s6, 3
	v_and_or_b32 v1, 0x7fffff8, s6, v1
	s_waitcnt lgkmcnt(0)
	v_cmp_gt_i32_e32 vcc_lo, s0, v1
	s_and_saveexec_b32 s0, vcc_lo
	s_cbranch_execz .LBB32_52
; %bb.11:
	s_load_dwordx16 s[8:23], s[4:5], 0x8
	v_lshlrev_b32_e32 v1, 2, v1
	v_and_b32_e32 v0, 31, v0
	s_mov_b32 s6, exec_lo
	s_waitcnt lgkmcnt(0)
	global_load_dword v5, v1, s[18:19]
	s_waitcnt vmcnt(0)
	v_ashrrev_i32_e32 v6, 31, v5
	v_lshlrev_b64 v[1:2], 2, v[5:6]
	v_add_co_u32 v8, vcc_lo, s8, v1
	v_add_co_ci_u32_e64 v9, null, s9, v2, vcc_lo
	v_add_co_u32 v6, vcc_lo, s14, v1
	v_add_co_ci_u32_e64 v7, null, s15, v2, vcc_lo
	global_load_dword v10, v[8:9], off
	global_load_dword v6, v[6:7], off
	s_waitcnt vmcnt(1)
	v_subrev_nc_u32_e32 v7, s2, v10
	s_waitcnt vmcnt(0)
	v_cmpx_lt_i32_e64 v7, v6
	s_cbranch_execz .LBB32_28
; %bb.12:
	global_load_dword v8, v[8:9], off offset:4
	v_add_nc_u32_e32 v18, 1, v0
	s_mov_b32 s7, 0
	s_waitcnt vmcnt(0)
	v_xad_u32 v19, s2, -1, v8
	s_branch .LBB32_15
.LBB32_13:                              ;   in Loop: Header=BB32_15 Depth=1
	s_or_b32 exec_lo, exec_lo, s18
	v_cmp_ge_i32_e32 vcc_lo, v7, v6
	s_orn2_b32 s18, vcc_lo, exec_lo
.LBB32_14:                              ;   in Loop: Header=BB32_15 Depth=1
	s_or_b32 exec_lo, exec_lo, s0
	s_and_b32 s0, exec_lo, s18
	s_or_b32 s7, s0, s7
	s_andn2_b32 exec_lo, exec_lo, s7
	s_cbranch_execz .LBB32_28
.LBB32_15:                              ; =>This Loop Header: Depth=1
                                        ;     Child Loop BB32_17 Depth 2
                                        ;     Child Loop BB32_22 Depth 2
                                        ;       Child Loop BB32_24 Depth 3
	v_ashrrev_i32_e32 v8, 31, v7
	s_mov_b32 s0, exec_lo
	v_lshlrev_b64 v[9:10], 2, v[7:8]
	v_lshlrev_b64 v[12:13], 3, v[7:8]
	v_add_co_u32 v9, vcc_lo, s10, v9
	v_add_co_ci_u32_e64 v10, null, s11, v10, vcc_lo
	v_add_co_u32 v12, vcc_lo, s12, v12
	v_add_co_ci_u32_e64 v13, null, s13, v13, vcc_lo
	global_load_dword v9, v[9:10], off
	s_waitcnt vmcnt(0)
	v_subrev_nc_u32_e32 v9, s2, v9
	v_ashrrev_i32_e32 v10, 31, v9
	v_lshlrev_b64 v[8:9], 2, v[9:10]
	v_add_co_u32 v14, vcc_lo, s8, v8
	v_add_co_ci_u32_e64 v15, null, s9, v9, vcc_lo
	v_add_co_u32 v20, vcc_lo, s14, v8
	v_add_co_ci_u32_e64 v21, null, s15, v9, vcc_lo
	;; [unrolled: 2-line block ×3, first 2 shown]
	global_load_dwordx2 v[8:9], v[12:13], off
	global_load_dword v15, v[14:15], off offset:4
	global_load_dword v14, v[20:21], off
	global_load_dword v20, v[10:11], off glc dlc
	s_waitcnt vmcnt(0)
	v_cmpx_eq_u32_e32 0, v20
	s_cbranch_execz .LBB32_18
; %bb.16:                               ;   in Loop: Header=BB32_15 Depth=1
	s_mov_b32 s18, 0
.LBB32_17:                              ;   Parent Loop BB32_15 Depth=1
                                        ; =>  This Inner Loop Header: Depth=2
	global_load_dword v20, v[10:11], off glc dlc
	s_waitcnt vmcnt(0)
	v_cmp_ne_u32_e32 vcc_lo, 0, v20
	s_or_b32 s18, vcc_lo, s18
	s_andn2_b32 exec_lo, exec_lo, s18
	s_cbranch_execnz .LBB32_17
.LBB32_18:                              ;   in Loop: Header=BB32_15 Depth=1
	s_or_b32 exec_lo, exec_lo, s0
	v_subrev_nc_u32_e32 v20, s2, v15
	v_cmp_eq_u32_e32 vcc_lo, -1, v14
	buffer_gl1_inv
	buffer_gl0_inv
	s_mov_b32 s18, -1
	v_add_nc_u32_e32 v10, -1, v20
	v_cndmask_b32_e32 v10, v14, v10, vcc_lo
	v_ashrrev_i32_e32 v11, 31, v10
	v_lshlrev_b64 v[14:15], 3, v[10:11]
	v_add_co_u32 v14, vcc_lo, s12, v14
	v_add_co_ci_u32_e64 v15, null, s13, v15, vcc_lo
	global_load_dwordx2 v[14:15], v[14:15], off
	s_waitcnt vmcnt(0)
	v_cmp_neq_f32_e32 vcc_lo, 0, v14
	v_cmp_neq_f32_e64 s0, 0, v15
	s_or_b32 s0, vcc_lo, s0
	s_and_saveexec_b32 s19, s0
	s_xor_b32 s0, exec_lo, s19
	s_cbranch_execz .LBB32_14
; %bb.19:                               ;   in Loop: Header=BB32_15 Depth=1
	v_mul_f32_e32 v11, v15, v15
	v_add_nc_u32_e32 v7, 1, v7
	s_mov_b32 s18, exec_lo
	v_fmac_f32_e32 v11, v14, v14
	v_div_scale_f32 v21, null, v11, v11, 1.0
	v_div_scale_f32 v24, vcc_lo, 1.0, v11, 1.0
	v_rcp_f32_e32 v22, v21
	v_fma_f32 v23, -v21, v22, 1.0
	v_fmac_f32_e32 v22, v23, v22
	v_mul_f32_e32 v23, v24, v22
	v_fma_f32 v25, -v21, v23, v24
	v_fmac_f32_e32 v23, v25, v22
	v_fma_f32 v21, -v21, v23, v24
	v_mul_f32_e32 v24, v9, v15
	v_mul_f32_e64 v15, v15, -v8
	v_div_fmas_f32 v21, v21, v22, v23
	v_fmac_f32_e32 v24, v8, v14
	v_fmac_f32_e32 v15, v9, v14
	v_add_nc_u32_e32 v8, v18, v10
	v_div_fixup_f32 v11, v21, v11, 1.0
	v_mul_f32_e32 v10, v24, v11
	v_mul_f32_e32 v11, v15, v11
	global_store_dwordx2 v[12:13], v[10:11], off
	v_cmpx_lt_i32_e64 v8, v20
	s_cbranch_execz .LBB32_13
; %bb.20:                               ;   in Loop: Header=BB32_15 Depth=1
	v_mov_b32_e32 v12, v7
	s_mov_b32 s19, 0
	s_branch .LBB32_22
.LBB32_21:                              ;   in Loop: Header=BB32_22 Depth=2
	s_or_b32 exec_lo, exec_lo, s26
	v_add_nc_u32_e32 v8, 32, v8
	v_cmp_ge_i32_e32 vcc_lo, v8, v20
	s_or_b32 s19, vcc_lo, s19
	s_andn2_b32 exec_lo, exec_lo, s19
	s_cbranch_execz .LBB32_13
.LBB32_22:                              ;   Parent Loop BB32_15 Depth=1
                                        ; =>  This Loop Header: Depth=2
                                        ;       Child Loop BB32_24 Depth 3
	v_add_nc_u32_e32 v9, v12, v19
	s_mov_b32 s26, exec_lo
	v_ashrrev_i32_e32 v13, 1, v9
	v_ashrrev_i32_e32 v9, 31, v8
	;; [unrolled: 1-line block ×3, first 2 shown]
	v_lshlrev_b64 v[21:22], 2, v[8:9]
	v_lshlrev_b64 v[14:15], 2, v[13:14]
	v_add_co_u32 v21, vcc_lo, s10, v21
	v_add_co_ci_u32_e64 v22, null, s11, v22, vcc_lo
	v_add_co_u32 v23, vcc_lo, s10, v14
	v_add_co_ci_u32_e64 v24, null, s11, v15, vcc_lo
	s_clause 0x1
	global_load_dword v15, v[21:22], off
	global_load_dword v14, v[23:24], off
	v_cmpx_lt_i32_e64 v12, v19
	s_cbranch_execz .LBB32_26
; %bb.23:                               ;   in Loop: Header=BB32_22 Depth=2
	v_mov_b32_e32 v21, v19
	s_mov_b32 s27, 0
	.p2align	6
.LBB32_24:                              ;   Parent Loop BB32_15 Depth=1
                                        ;     Parent Loop BB32_22 Depth=2
                                        ; =>    This Inner Loop Header: Depth=3
	v_add_nc_u32_e32 v22, 1, v13
	s_waitcnt vmcnt(0)
	v_cmp_lt_i32_e32 vcc_lo, v14, v15
	v_cndmask_b32_e32 v21, v13, v21, vcc_lo
	v_cndmask_b32_e32 v12, v12, v22, vcc_lo
	v_add_nc_u32_e32 v13, v21, v12
	v_ashrrev_i32_e32 v13, 1, v13
	v_ashrrev_i32_e32 v14, 31, v13
	v_lshlrev_b64 v[22:23], 2, v[13:14]
	v_add_co_u32 v22, vcc_lo, s10, v22
	v_add_co_ci_u32_e64 v23, null, s11, v23, vcc_lo
	v_cmp_ge_i32_e32 vcc_lo, v12, v21
	global_load_dword v14, v[22:23], off
	s_or_b32 s27, vcc_lo, s27
	s_andn2_b32 exec_lo, exec_lo, s27
	s_cbranch_execnz .LBB32_24
; %bb.25:                               ;   in Loop: Header=BB32_22 Depth=2
	s_or_b32 exec_lo, exec_lo, s27
.LBB32_26:                              ;   in Loop: Header=BB32_22 Depth=2
	s_or_b32 exec_lo, exec_lo, s26
	s_mov_b32 s26, exec_lo
	s_waitcnt vmcnt(0)
	v_cmpx_eq_u32_e64 v14, v15
	s_cbranch_execz .LBB32_21
; %bb.27:                               ;   in Loop: Header=BB32_22 Depth=2
	v_ashrrev_i32_e32 v13, 31, v12
	v_lshlrev_b64 v[14:15], 3, v[8:9]
	v_lshlrev_b64 v[21:22], 3, v[12:13]
	v_add_co_u32 v13, vcc_lo, s12, v14
	v_add_co_ci_u32_e64 v14, null, s13, v15, vcc_lo
	v_add_co_u32 v21, vcc_lo, s12, v21
	v_add_co_ci_u32_e64 v22, null, s13, v22, vcc_lo
	s_clause 0x1
	global_load_dwordx2 v[13:14], v[13:14], off
	global_load_dwordx2 v[23:24], v[21:22], off
	s_waitcnt vmcnt(0)
	v_fma_f32 v23, -v10, v13, v23
	v_fma_f32 v9, -v11, v13, v24
	v_fmac_f32_e32 v23, v11, v14
	v_fma_f32 v24, -v10, v14, v9
	global_store_dwordx2 v[21:22], v[23:24], off
	s_branch .LBB32_21
.LBB32_28:
	s_or_b32 exec_lo, exec_lo, s6
	s_mov_b32 s6, exec_lo
	s_waitcnt_vscnt null, 0x0
	buffer_gl0_inv
	v_cmpx_lt_i32_e32 -1, v6
	s_cbranch_execz .LBB32_50
; %bb.29:
	v_mov_b32_e32 v7, 0
	s_mov_b32 s0, exec_lo
	v_lshlrev_b64 v[8:9], 3, v[6:7]
	v_add_co_u32 v10, vcc_lo, s12, v8
	v_add_co_ci_u32_e64 v11, null, s13, v9, vcc_lo
	global_load_dwordx2 v[8:9], v[10:11], off
	s_waitcnt vmcnt(0)
	v_cmp_gt_f32_e32 vcc_lo, 0, v8
	v_cndmask_b32_e64 v6, v8, -v8, vcc_lo
	v_cmp_gt_f32_e32 vcc_lo, 0, v9
	v_cndmask_b32_e64 v12, v9, -v9, vcc_lo
	v_cmpx_ngt_f32_e32 v6, v12
	s_xor_b32 s7, exec_lo, s0
	s_cbranch_execz .LBB32_33
; %bb.30:
	s_mov_b32 s8, exec_lo
	v_cmpx_neq_f32_e32 0, v9
	s_cbranch_execz .LBB32_32
; %bb.31:
	v_div_scale_f32 v7, null, v12, v12, v6
	v_div_scale_f32 v15, vcc_lo, v6, v12, v6
	v_rcp_f32_e32 v13, v7
	v_fma_f32 v14, -v7, v13, 1.0
	v_fmac_f32_e32 v13, v14, v13
	v_mul_f32_e32 v14, v15, v13
	v_fma_f32 v18, -v7, v14, v15
	v_fmac_f32_e32 v14, v18, v13
	v_fma_f32 v7, -v7, v14, v15
	v_div_fmas_f32 v7, v7, v13, v14
	v_div_fixup_f32 v6, v7, v12, v6
	v_fma_f32 v6, v6, v6, 1.0
	v_mul_f32_e32 v7, 0x4f800000, v6
	v_cmp_gt_f32_e32 vcc_lo, 0xf800000, v6
	v_cndmask_b32_e32 v6, v6, v7, vcc_lo
	v_sqrt_f32_e32 v7, v6
	v_add_nc_u32_e32 v13, -1, v7
	v_add_nc_u32_e32 v14, 1, v7
	v_fma_f32 v15, -v13, v7, v6
	v_fma_f32 v18, -v14, v7, v6
	v_cmp_ge_f32_e64 s0, 0, v15
	v_cndmask_b32_e64 v7, v7, v13, s0
	v_cmp_lt_f32_e64 s0, 0, v18
	v_cndmask_b32_e64 v7, v7, v14, s0
	v_mul_f32_e32 v13, 0x37800000, v7
	v_cndmask_b32_e32 v7, v7, v13, vcc_lo
	v_cmp_class_f32_e64 vcc_lo, v6, 0x260
	v_cndmask_b32_e32 v6, v7, v6, vcc_lo
	v_mul_f32_e32 v7, v12, v6
.LBB32_32:
	s_or_b32 exec_lo, exec_lo, s8
                                        ; implicit-def: $vgpr6
                                        ; implicit-def: $vgpr12
.LBB32_33:
	s_andn2_saveexec_b32 s7, s7
	s_cbranch_execz .LBB32_35
; %bb.34:
	v_div_scale_f32 v7, null, v6, v6, v12
	v_div_scale_f32 v15, vcc_lo, v12, v6, v12
	v_rcp_f32_e32 v13, v7
	v_fma_f32 v14, -v7, v13, 1.0
	v_fmac_f32_e32 v13, v14, v13
	v_mul_f32_e32 v14, v15, v13
	v_fma_f32 v18, -v7, v14, v15
	v_fmac_f32_e32 v14, v18, v13
	v_fma_f32 v7, -v7, v14, v15
	v_div_fmas_f32 v7, v7, v13, v14
	v_div_fixup_f32 v7, v7, v6, v12
	v_fma_f32 v7, v7, v7, 1.0
	v_mul_f32_e32 v12, 0x4f800000, v7
	v_cmp_gt_f32_e32 vcc_lo, 0xf800000, v7
	v_cndmask_b32_e32 v7, v7, v12, vcc_lo
	v_sqrt_f32_e32 v12, v7
	v_add_nc_u32_e32 v13, -1, v12
	v_add_nc_u32_e32 v14, 1, v12
	v_fma_f32 v15, -v13, v12, v7
	v_fma_f32 v18, -v14, v12, v7
	v_cmp_ge_f32_e64 s0, 0, v15
	v_cndmask_b32_e64 v12, v12, v13, s0
	v_cmp_lt_f32_e64 s0, 0, v18
	v_cndmask_b32_e64 v12, v12, v14, s0
	v_mul_f32_e32 v13, 0x37800000, v12
	v_cndmask_b32_e32 v12, v12, v13, vcc_lo
	v_cmp_class_f32_e64 vcc_lo, v7, 0x260
	v_cndmask_b32_e32 v7, v12, v7, vcc_lo
	v_mul_f32_e32 v7, v6, v7
.LBB32_35:
	s_or_b32 exec_lo, exec_lo, s7
	v_cvt_f64_f32_e32 v[6:7], v7
	v_cmp_ne_u32_e32 vcc_lo, 1, v17
	v_cmp_eq_u32_e64 s0, 0, v0
	s_mov_b32 s7, -1
	s_cbranch_vccnz .LBB32_39
; %bb.36:
	v_cvt_f64_f32_e32 v[12:13], v16
	s_cmp_eq_u64 s[24:25], 8
	s_cselect_b32 vcc_lo, -1, 0
	v_cndmask_b32_e32 v4, v13, v4, vcc_lo
	v_cndmask_b32_e32 v3, v12, v3, vcc_lo
	v_cmp_ge_f64_e32 vcc_lo, v[3:4], v[6:7]
	s_and_b32 s8, s0, vcc_lo
	s_and_saveexec_b32 s7, s8
	s_cbranch_execz .LBB32_38
; %bb.37:
	v_mov_b32_e32 v3, s1
	v_mov_b32_e32 v4, s3
	global_store_dwordx2 v[10:11], v[3:4], off
.LBB32_38:
	s_or_b32 exec_lo, exec_lo, s7
	s_mov_b32 s7, 0
.LBB32_39:
	s_andn2_b32 vcc_lo, exec_lo, s7
	s_cbranch_vccnz .LBB32_50
; %bb.40:
	s_load_dwordx2 s[4:5], s[4:5], 0x48
	v_add_nc_u32_e32 v3, s2, v5
	s_waitcnt lgkmcnt(0)
	v_cmp_ge_f64_e32 vcc_lo, s[4:5], v[6:7]
	s_and_b32 s2, s0, vcc_lo
	s_and_saveexec_b32 s1, s2
	s_cbranch_execz .LBB32_45
; %bb.41:
	s_mov_b32 s3, exec_lo
	s_brev_b32 s2, -2
.LBB32_42:                              ; =>This Inner Loop Header: Depth=1
	s_ff1_i32_b32 s4, s3
	v_readlane_b32 s5, v3, s4
	s_lshl_b32 s4, 1, s4
	s_andn2_b32 s3, s3, s4
	s_min_i32 s2, s2, s5
	s_cmp_lg_u32 s3, 0
	s_cbranch_scc1 .LBB32_42
; %bb.43:
	v_mbcnt_lo_u32_b32 v4, exec_lo, 0
	s_mov_b32 s3, exec_lo
	v_cmpx_eq_u32_e32 0, v4
	s_xor_b32 s3, exec_lo, s3
	s_cbranch_execz .LBB32_45
; %bb.44:
	v_mov_b32_e32 v4, 0
	v_mov_b32_e32 v5, s2
	global_atomic_smin v4, v5, s[22:23]
.LBB32_45:
	s_or_b32 exec_lo, exec_lo, s1
	v_cmp_eq_f32_e32 vcc_lo, 0, v8
	v_cmp_eq_f32_e64 s1, 0, v9
	s_and_b32 s1, vcc_lo, s1
	s_and_b32 s0, s0, s1
	s_and_b32 exec_lo, exec_lo, s0
	s_cbranch_execz .LBB32_50
; %bb.46:
	s_mov_b32 s1, exec_lo
	s_brev_b32 s0, -2
.LBB32_47:                              ; =>This Inner Loop Header: Depth=1
	s_ff1_i32_b32 s2, s1
	v_readlane_b32 s3, v3, s2
	s_lshl_b32 s2, 1, s2
	s_andn2_b32 s1, s1, s2
	s_min_i32 s0, s0, s3
	s_cmp_lg_u32 s1, 0
	s_cbranch_scc1 .LBB32_47
; %bb.48:
	v_mbcnt_lo_u32_b32 v3, exec_lo, 0
	s_mov_b32 s1, exec_lo
	v_cmpx_eq_u32_e32 0, v3
	s_xor_b32 s1, exec_lo, s1
	s_cbranch_execz .LBB32_50
; %bb.49:
	v_mov_b32_e32 v3, 0
	v_mov_b32_e32 v4, s0
	global_atomic_smin v3, v4, s[20:21]
.LBB32_50:
	s_or_b32 exec_lo, exec_lo, s6
	v_cmp_eq_u32_e32 vcc_lo, 0, v0
	s_waitcnt_vscnt null, 0x0
	buffer_gl1_inv
	buffer_gl0_inv
	s_and_b32 exec_lo, exec_lo, vcc_lo
	s_cbranch_execz .LBB32_52
; %bb.51:
	v_add_co_u32 v0, vcc_lo, s16, v1
	v_add_co_ci_u32_e64 v1, null, s17, v2, vcc_lo
	v_mov_b32_e32 v2, 1
	global_store_dword v[0:1], v2, off
.LBB32_52:
	s_endpgm
	.section	.rodata,"a",@progbits
	.p2align	6, 0x0
	.amdhsa_kernel _ZN9rocsparseL17csrilu0_binsearchILj256ELj32ELb0E21rocsparse_complex_numIfEEEviPKiS4_PT2_S4_PiS4_S7_S7_d21rocsparse_index_base_imNS_24const_host_device_scalarIfEENS9_IdEENS9_IS5_EEb
		.amdhsa_group_segment_fixed_size 0
		.amdhsa_private_segment_fixed_size 0
		.amdhsa_kernarg_size 124
		.amdhsa_user_sgpr_count 6
		.amdhsa_user_sgpr_private_segment_buffer 1
		.amdhsa_user_sgpr_dispatch_ptr 0
		.amdhsa_user_sgpr_queue_ptr 0
		.amdhsa_user_sgpr_kernarg_segment_ptr 1
		.amdhsa_user_sgpr_dispatch_id 0
		.amdhsa_user_sgpr_flat_scratch_init 0
		.amdhsa_user_sgpr_private_segment_size 0
		.amdhsa_wavefront_size32 1
		.amdhsa_uses_dynamic_stack 0
		.amdhsa_system_sgpr_private_segment_wavefront_offset 0
		.amdhsa_system_sgpr_workgroup_id_x 1
		.amdhsa_system_sgpr_workgroup_id_y 0
		.amdhsa_system_sgpr_workgroup_id_z 0
		.amdhsa_system_sgpr_workgroup_info 0
		.amdhsa_system_vgpr_workitem_id 0
		.amdhsa_next_free_vgpr 26
		.amdhsa_next_free_sgpr 32
		.amdhsa_reserve_vcc 1
		.amdhsa_reserve_flat_scratch 0
		.amdhsa_float_round_mode_32 0
		.amdhsa_float_round_mode_16_64 0
		.amdhsa_float_denorm_mode_32 3
		.amdhsa_float_denorm_mode_16_64 3
		.amdhsa_dx10_clamp 1
		.amdhsa_ieee_mode 1
		.amdhsa_fp16_overflow 0
		.amdhsa_workgroup_processor_mode 1
		.amdhsa_memory_ordered 1
		.amdhsa_forward_progress 1
		.amdhsa_shared_vgpr_count 0
		.amdhsa_exception_fp_ieee_invalid_op 0
		.amdhsa_exception_fp_denorm_src 0
		.amdhsa_exception_fp_ieee_div_zero 0
		.amdhsa_exception_fp_ieee_overflow 0
		.amdhsa_exception_fp_ieee_underflow 0
		.amdhsa_exception_fp_ieee_inexact 0
		.amdhsa_exception_int_div_zero 0
	.end_amdhsa_kernel
	.section	.text._ZN9rocsparseL17csrilu0_binsearchILj256ELj32ELb0E21rocsparse_complex_numIfEEEviPKiS4_PT2_S4_PiS4_S7_S7_d21rocsparse_index_base_imNS_24const_host_device_scalarIfEENS9_IdEENS9_IS5_EEb,"axG",@progbits,_ZN9rocsparseL17csrilu0_binsearchILj256ELj32ELb0E21rocsparse_complex_numIfEEEviPKiS4_PT2_S4_PiS4_S7_S7_d21rocsparse_index_base_imNS_24const_host_device_scalarIfEENS9_IdEENS9_IS5_EEb,comdat
.Lfunc_end32:
	.size	_ZN9rocsparseL17csrilu0_binsearchILj256ELj32ELb0E21rocsparse_complex_numIfEEEviPKiS4_PT2_S4_PiS4_S7_S7_d21rocsparse_index_base_imNS_24const_host_device_scalarIfEENS9_IdEENS9_IS5_EEb, .Lfunc_end32-_ZN9rocsparseL17csrilu0_binsearchILj256ELj32ELb0E21rocsparse_complex_numIfEEEviPKiS4_PT2_S4_PiS4_S7_S7_d21rocsparse_index_base_imNS_24const_host_device_scalarIfEENS9_IdEENS9_IS5_EEb
                                        ; -- End function
	.set _ZN9rocsparseL17csrilu0_binsearchILj256ELj32ELb0E21rocsparse_complex_numIfEEEviPKiS4_PT2_S4_PiS4_S7_S7_d21rocsparse_index_base_imNS_24const_host_device_scalarIfEENS9_IdEENS9_IS5_EEb.num_vgpr, 26
	.set _ZN9rocsparseL17csrilu0_binsearchILj256ELj32ELb0E21rocsparse_complex_numIfEEEviPKiS4_PT2_S4_PiS4_S7_S7_d21rocsparse_index_base_imNS_24const_host_device_scalarIfEENS9_IdEENS9_IS5_EEb.num_agpr, 0
	.set _ZN9rocsparseL17csrilu0_binsearchILj256ELj32ELb0E21rocsparse_complex_numIfEEEviPKiS4_PT2_S4_PiS4_S7_S7_d21rocsparse_index_base_imNS_24const_host_device_scalarIfEENS9_IdEENS9_IS5_EEb.numbered_sgpr, 32
	.set _ZN9rocsparseL17csrilu0_binsearchILj256ELj32ELb0E21rocsparse_complex_numIfEEEviPKiS4_PT2_S4_PiS4_S7_S7_d21rocsparse_index_base_imNS_24const_host_device_scalarIfEENS9_IdEENS9_IS5_EEb.num_named_barrier, 0
	.set _ZN9rocsparseL17csrilu0_binsearchILj256ELj32ELb0E21rocsparse_complex_numIfEEEviPKiS4_PT2_S4_PiS4_S7_S7_d21rocsparse_index_base_imNS_24const_host_device_scalarIfEENS9_IdEENS9_IS5_EEb.private_seg_size, 0
	.set _ZN9rocsparseL17csrilu0_binsearchILj256ELj32ELb0E21rocsparse_complex_numIfEEEviPKiS4_PT2_S4_PiS4_S7_S7_d21rocsparse_index_base_imNS_24const_host_device_scalarIfEENS9_IdEENS9_IS5_EEb.uses_vcc, 1
	.set _ZN9rocsparseL17csrilu0_binsearchILj256ELj32ELb0E21rocsparse_complex_numIfEEEviPKiS4_PT2_S4_PiS4_S7_S7_d21rocsparse_index_base_imNS_24const_host_device_scalarIfEENS9_IdEENS9_IS5_EEb.uses_flat_scratch, 0
	.set _ZN9rocsparseL17csrilu0_binsearchILj256ELj32ELb0E21rocsparse_complex_numIfEEEviPKiS4_PT2_S4_PiS4_S7_S7_d21rocsparse_index_base_imNS_24const_host_device_scalarIfEENS9_IdEENS9_IS5_EEb.has_dyn_sized_stack, 0
	.set _ZN9rocsparseL17csrilu0_binsearchILj256ELj32ELb0E21rocsparse_complex_numIfEEEviPKiS4_PT2_S4_PiS4_S7_S7_d21rocsparse_index_base_imNS_24const_host_device_scalarIfEENS9_IdEENS9_IS5_EEb.has_recursion, 0
	.set _ZN9rocsparseL17csrilu0_binsearchILj256ELj32ELb0E21rocsparse_complex_numIfEEEviPKiS4_PT2_S4_PiS4_S7_S7_d21rocsparse_index_base_imNS_24const_host_device_scalarIfEENS9_IdEENS9_IS5_EEb.has_indirect_call, 0
	.section	.AMDGPU.csdata,"",@progbits
; Kernel info:
; codeLenInByte = 2216
; TotalNumSgprs: 34
; NumVgprs: 26
; ScratchSize: 0
; MemoryBound: 0
; FloatMode: 240
; IeeeMode: 1
; LDSByteSize: 0 bytes/workgroup (compile time only)
; SGPRBlocks: 0
; VGPRBlocks: 3
; NumSGPRsForWavesPerEU: 34
; NumVGPRsForWavesPerEU: 26
; Occupancy: 16
; WaveLimiterHint : 1
; COMPUTE_PGM_RSRC2:SCRATCH_EN: 0
; COMPUTE_PGM_RSRC2:USER_SGPR: 6
; COMPUTE_PGM_RSRC2:TRAP_HANDLER: 0
; COMPUTE_PGM_RSRC2:TGID_X_EN: 1
; COMPUTE_PGM_RSRC2:TGID_Y_EN: 0
; COMPUTE_PGM_RSRC2:TGID_Z_EN: 0
; COMPUTE_PGM_RSRC2:TIDIG_COMP_CNT: 0
	.section	.text._ZN9rocsparseL12csrilu0_hashILj256ELj64ELj1E21rocsparse_complex_numIfEEEviPKiS4_PT2_S4_PiS4_S7_S7_d21rocsparse_index_base_imNS_24const_host_device_scalarIfEENS9_IdEENS9_IS5_EEb,"axG",@progbits,_ZN9rocsparseL12csrilu0_hashILj256ELj64ELj1E21rocsparse_complex_numIfEEEviPKiS4_PT2_S4_PiS4_S7_S7_d21rocsparse_index_base_imNS_24const_host_device_scalarIfEENS9_IdEENS9_IS5_EEb,comdat
	.globl	_ZN9rocsparseL12csrilu0_hashILj256ELj64ELj1E21rocsparse_complex_numIfEEEviPKiS4_PT2_S4_PiS4_S7_S7_d21rocsparse_index_base_imNS_24const_host_device_scalarIfEENS9_IdEENS9_IS5_EEb ; -- Begin function _ZN9rocsparseL12csrilu0_hashILj256ELj64ELj1E21rocsparse_complex_numIfEEEviPKiS4_PT2_S4_PiS4_S7_S7_d21rocsparse_index_base_imNS_24const_host_device_scalarIfEENS9_IdEENS9_IS5_EEb
	.p2align	8
	.type	_ZN9rocsparseL12csrilu0_hashILj256ELj64ELj1E21rocsparse_complex_numIfEEEviPKiS4_PT2_S4_PiS4_S7_S7_d21rocsparse_index_base_imNS_24const_host_device_scalarIfEENS9_IdEENS9_IS5_EEb,@function
_ZN9rocsparseL12csrilu0_hashILj256ELj64ELj1E21rocsparse_complex_numIfEEEviPKiS4_PT2_S4_PiS4_S7_S7_d21rocsparse_index_base_imNS_24const_host_device_scalarIfEENS9_IdEENS9_IS5_EEb: ; @_ZN9rocsparseL12csrilu0_hashILj256ELj64ELj1E21rocsparse_complex_numIfEEEviPKiS4_PT2_S4_PiS4_S7_S7_d21rocsparse_index_base_imNS_24const_host_device_scalarIfEENS9_IdEENS9_IS5_EEb
; %bb.0:
	s_clause 0x2
	s_load_dword s0, s[4:5], 0x78
	s_load_dwordx2 s[2:3], s[4:5], 0x50
	s_load_dwordx8 s[24:31], s[4:5], 0x58
	s_waitcnt lgkmcnt(0)
	s_bitcmp1_b32 s0, 0
	s_cselect_b32 s7, -1, 0
	s_cmp_eq_u32 s3, 0
	s_cselect_b32 s9, -1, 0
	s_cmp_lg_u32 s3, 0
	s_cselect_b32 s3, -1, 0
	s_or_b32 s10, s9, s7
	s_xor_b32 s8, s10, -1
	s_and_b32 s0, s9, exec_lo
	s_cselect_b32 s1, 0, s29
	s_cselect_b32 s0, 0, s28
	s_and_b32 vcc_lo, exec_lo, s10
	s_cbranch_vccnz .LBB33_2
; %bb.1:
	s_load_dword s0, s[26:27], 0x0
	s_waitcnt lgkmcnt(0)
	v_mov_b32_e32 v16, s0
	s_mov_b64 s[0:1], s[28:29]
	v_mov_b32_e32 v3, s1
	v_mov_b32_e32 v2, s0
	s_andn2_b32 vcc_lo, exec_lo, s8
	s_cbranch_vccz .LBB33_3
	s_branch .LBB33_4
.LBB33_2:
	v_cndmask_b32_e64 v16, s26, 0, s9
	v_mov_b32_e32 v3, s1
	v_mov_b32_e32 v2, s0
	s_andn2_b32 vcc_lo, exec_lo, s8
	s_cbranch_vccnz .LBB33_4
.LBB33_3:
	v_mov_b32_e32 v1, s28
	v_mov_b32_e32 v2, s29
	flat_load_dwordx2 v[2:3], v[1:2]
.LBB33_4:
	v_cndmask_b32_e64 v17, 0, 1, s3
	s_mov_b32 s1, 0
	s_andn2_b32 vcc_lo, exec_lo, s3
	s_mov_b32 s3, 0
	s_cbranch_vccnz .LBB33_10
; %bb.5:
	s_xor_b32 s0, s7, -1
	s_mov_b32 s1, s30
	v_cndmask_b32_e64 v1, 0, 1, s0
	s_andn2_b32 vcc_lo, exec_lo, s0
	s_cbranch_vccnz .LBB33_7
; %bb.6:
	s_load_dword s1, s[30:31], 0x0
.LBB33_7:
	v_cmp_ne_u32_e32 vcc_lo, 1, v1
	s_cbranch_vccnz .LBB33_9
; %bb.8:
	s_load_dword s31, s[30:31], 0x4
.LBB33_9:
	s_waitcnt lgkmcnt(0)
	s_mov_b32 s3, s31
.LBB33_10:
	s_load_dword s0, s[4:5], 0x0
	v_and_b32_e32 v8, 0xc0, v0
	v_lshrrev_b32_e32 v1, 6, v0
	s_lshl_b32 s6, s6, 2
	v_and_b32_e32 v15, 63, v0
	v_mov_b32_e32 v4, -1
	v_lshl_or_b32 v18, v8, 2, 0x400
	v_and_or_b32 v0, 0x3fffffc, s6, v1
	v_lshl_or_b32 v1, v15, 2, v18
	ds_write_b32 v1, v4
	s_waitcnt vmcnt(0) lgkmcnt(0)
	buffer_gl0_inv
	v_cmp_gt_i32_e32 vcc_lo, s0, v0
	s_and_saveexec_b32 s0, vcc_lo
	s_cbranch_execz .LBB33_88
; %bb.11:
	s_load_dwordx16 s[8:23], s[4:5], 0x8
	v_lshlrev_b32_e32 v0, 2, v0
	v_lshlrev_b32_e32 v19, 2, v8
	s_mov_b32 s0, exec_lo
	s_waitcnt lgkmcnt(0)
	global_load_dword v4, v0, s[18:19]
	s_waitcnt vmcnt(0)
	v_ashrrev_i32_e32 v5, 31, v4
	v_lshlrev_b64 v[0:1], 2, v[4:5]
	v_add_co_u32 v5, vcc_lo, s8, v0
	v_add_co_ci_u32_e64 v6, null, s9, v1, vcc_lo
	v_add_co_u32 v9, vcc_lo, s14, v0
	v_add_co_ci_u32_e64 v10, null, s15, v1, vcc_lo
	global_load_dwordx2 v[6:7], v[5:6], off
	global_load_dword v5, v[9:10], off
	s_waitcnt vmcnt(1)
	v_subrev_nc_u32_e32 v6, s2, v6
	v_subrev_nc_u32_e32 v9, s2, v7
	v_add_nc_u32_e32 v7, v6, v15
	v_cmpx_lt_i32_e64 v7, v9
	s_cbranch_execz .LBB33_34
; %bb.12:
	v_mov_b32_e32 v10, -1
	s_mov_b32 s6, 0
	s_branch .LBB33_14
.LBB33_13:                              ;   in Loop: Header=BB33_14 Depth=1
	s_or_b32 exec_lo, exec_lo, s7
	v_add_nc_u32_e32 v7, 64, v7
	v_cmp_ge_i32_e32 vcc_lo, v7, v9
	s_or_b32 s6, vcc_lo, s6
	s_andn2_b32 exec_lo, exec_lo, s6
	s_cbranch_execz .LBB33_34
.LBB33_14:                              ; =>This Loop Header: Depth=1
                                        ;     Child Loop BB33_23 Depth 2
	v_ashrrev_i32_e32 v8, 31, v7
	s_mov_b32 s7, 0
                                        ; implicit-def: $sgpr18
                                        ; implicit-def: $sgpr19
                                        ; implicit-def: $sgpr26
	v_lshlrev_b64 v[11:12], 2, v[7:8]
	v_add_co_u32 v11, vcc_lo, s10, v11
	v_add_co_ci_u32_e64 v12, null, s11, v12, vcc_lo
	global_load_dword v8, v[11:12], off
	v_mov_b32_e32 v11, 64
	s_waitcnt vmcnt(0)
	v_mul_lo_u32 v13, v8, 39
	s_branch .LBB33_23
.LBB33_15:                              ;   in Loop: Header=BB33_23 Depth=2
	s_or_b32 exec_lo, exec_lo, s37
	s_orn2_b32 s35, s35, exec_lo
	s_orn2_b32 s36, s36, exec_lo
.LBB33_16:                              ;   in Loop: Header=BB33_23 Depth=2
	s_or_b32 exec_lo, exec_lo, s34
	s_and_b32 s35, s35, exec_lo
	s_orn2_b32 s34, s36, exec_lo
.LBB33_17:                              ;   in Loop: Header=BB33_23 Depth=2
	s_or_b32 exec_lo, exec_lo, s33
	s_orn2_b32 s33, s35, exec_lo
	s_orn2_b32 s34, s34, exec_lo
.LBB33_18:                              ;   in Loop: Header=BB33_23 Depth=2
	s_or_b32 exec_lo, exec_lo, s31
	s_and_b32 s33, s33, exec_lo
	s_orn2_b32 s31, s34, exec_lo
.LBB33_19:                              ;   in Loop: Header=BB33_23 Depth=2
	s_or_b32 exec_lo, exec_lo, s30
	s_orn2_b32 s30, s33, exec_lo
	s_orn2_b32 s31, s31, exec_lo
.LBB33_20:                              ;   in Loop: Header=BB33_23 Depth=2
	s_or_b32 exec_lo, exec_lo, s29
	s_and_b32 s30, s30, exec_lo
	s_orn2_b32 s29, s31, exec_lo
.LBB33_21:                              ;   in Loop: Header=BB33_23 Depth=2
	s_or_b32 exec_lo, exec_lo, s28
	s_andn2_b32 s26, s26, exec_lo
	s_and_b32 s28, s30, exec_lo
	s_andn2_b32 s19, s19, exec_lo
	s_and_b32 s29, s29, exec_lo
	s_or_b32 s26, s26, s28
	s_or_b32 s19, s19, s29
.LBB33_22:                              ;   in Loop: Header=BB33_23 Depth=2
	s_or_b32 exec_lo, exec_lo, s27
	s_and_b32 s27, exec_lo, s19
	s_or_b32 s7, s27, s7
	s_andn2_b32 s18, s18, exec_lo
	s_and_b32 s27, s26, exec_lo
	s_or_b32 s18, s18, s27
	s_andn2_b32 exec_lo, exec_lo, s7
	s_cbranch_execz .LBB33_32
.LBB33_23:                              ;   Parent Loop BB33_14 Depth=1
                                        ; =>  This Inner Loop Header: Depth=2
	v_and_b32_e32 v12, 63, v13
	s_or_b32 s26, s26, exec_lo
	s_or_b32 s19, s19, exec_lo
	s_mov_b32 s27, exec_lo
	v_lshl_add_u32 v14, v12, 2, v18
	ds_read_b32 v20, v14
	s_waitcnt lgkmcnt(0)
	v_cmpx_ne_u32_e64 v20, v8
	s_cbranch_execz .LBB33_22
; %bb.24:                               ;   in Loop: Header=BB33_23 Depth=2
	ds_cmpst_rtn_b32 v14, v14, v10, v8
	s_mov_b32 s29, -1
	s_mov_b32 s30, 0
	s_mov_b32 s28, exec_lo
	s_waitcnt lgkmcnt(0)
	v_cmpx_ne_u32_e32 -1, v14
	s_cbranch_execz .LBB33_21
; %bb.25:                               ;   in Loop: Header=BB33_23 Depth=2
	v_add_nc_u32_e32 v12, 1, v13
	s_mov_b32 s31, -1
	s_mov_b32 s30, -1
	s_mov_b32 s29, exec_lo
	v_and_b32_e32 v12, 63, v12
	v_lshl_add_u32 v14, v12, 2, v18
	ds_read_b32 v20, v14
	s_waitcnt lgkmcnt(0)
	v_cmpx_ne_u32_e64 v20, v8
	s_cbranch_execz .LBB33_20
; %bb.26:                               ;   in Loop: Header=BB33_23 Depth=2
	ds_cmpst_rtn_b32 v14, v14, v10, v8
	s_mov_b32 s33, 0
	s_mov_b32 s30, exec_lo
	s_waitcnt lgkmcnt(0)
	v_cmpx_ne_u32_e32 -1, v14
	s_cbranch_execz .LBB33_19
; %bb.27:                               ;   in Loop: Header=BB33_23 Depth=2
	v_add_nc_u32_e32 v12, 2, v13
	s_mov_b32 s34, -1
	s_mov_b32 s33, -1
	s_mov_b32 s31, exec_lo
	v_and_b32_e32 v12, 63, v12
	v_lshl_add_u32 v14, v12, 2, v18
	ds_read_b32 v20, v14
	s_waitcnt lgkmcnt(0)
	v_cmpx_ne_u32_e64 v20, v8
	s_cbranch_execz .LBB33_18
; %bb.28:                               ;   in Loop: Header=BB33_23 Depth=2
	ds_cmpst_rtn_b32 v14, v14, v10, v8
	s_mov_b32 s35, 0
	s_mov_b32 s33, exec_lo
	s_waitcnt lgkmcnt(0)
	v_cmpx_ne_u32_e32 -1, v14
	s_cbranch_execz .LBB33_17
; %bb.29:                               ;   in Loop: Header=BB33_23 Depth=2
	v_add_nc_u32_e32 v12, 3, v13
	s_mov_b32 s36, -1
	s_mov_b32 s35, -1
	v_and_b32_e32 v12, 63, v12
	v_lshl_add_u32 v14, v12, 2, v18
	ds_read_b32 v13, v14
	s_waitcnt lgkmcnt(0)
	v_cmp_ne_u32_e32 vcc_lo, v13, v8
                                        ; implicit-def: $vgpr13
	s_and_saveexec_b32 s34, vcc_lo
	s_cbranch_execz .LBB33_16
; %bb.30:                               ;   in Loop: Header=BB33_23 Depth=2
	ds_cmpst_rtn_b32 v13, v14, v10, v8
	s_mov_b32 s35, 0
	s_waitcnt lgkmcnt(0)
	v_cmp_ne_u32_e32 vcc_lo, -1, v13
                                        ; implicit-def: $vgpr13
	s_and_saveexec_b32 s37, vcc_lo
	s_cbranch_execz .LBB33_15
; %bb.31:                               ;   in Loop: Header=BB33_23 Depth=2
	v_add_nc_u32_e32 v11, -4, v11
	v_add_nc_u32_e32 v13, 1, v12
	s_mov_b32 s35, exec_lo
	v_cmp_eq_u32_e32 vcc_lo, 0, v11
	s_orn2_b32 s36, vcc_lo, exec_lo
	s_branch .LBB33_15
.LBB33_32:                              ;   in Loop: Header=BB33_14 Depth=1
	s_or_b32 exec_lo, exec_lo, s7
	s_xor_b32 s7, s18, -1
	s_and_saveexec_b32 s18, s7
	s_xor_b32 s7, exec_lo, s18
	s_cbranch_execz .LBB33_13
; %bb.33:                               ;   in Loop: Header=BB33_14 Depth=1
	v_lshl_add_u32 v8, v12, 2, v19
	ds_write_b32 v8, v7
	s_branch .LBB33_13
.LBB33_34:
	s_or_b32 exec_lo, exec_lo, s0
	s_mov_b32 s6, exec_lo
	s_waitcnt vmcnt(0) lgkmcnt(0)
	buffer_gl0_inv
	v_cmpx_lt_i32_e64 v6, v5
	s_cbranch_execz .LBB33_64
; %bb.35:
	v_add_nc_u32_e32 v20, 1, v15
	s_mov_b32 s7, 0
	s_branch .LBB33_38
.LBB33_36:                              ;   in Loop: Header=BB33_38 Depth=1
	s_or_b32 exec_lo, exec_lo, s18
	v_add_nc_u32_e32 v6, 1, v6
	v_cmp_ge_i32_e32 vcc_lo, v6, v5
	s_orn2_b32 s18, vcc_lo, exec_lo
.LBB33_37:                              ;   in Loop: Header=BB33_38 Depth=1
	s_or_b32 exec_lo, exec_lo, s0
	s_and_b32 s0, exec_lo, s18
	s_or_b32 s7, s0, s7
	s_andn2_b32 exec_lo, exec_lo, s7
	s_cbranch_execz .LBB33_64
.LBB33_38:                              ; =>This Loop Header: Depth=1
                                        ;     Child Loop BB33_39 Depth 2
                                        ;     Child Loop BB33_44 Depth 2
                                        ;       Child Loop BB33_53 Depth 3
	v_ashrrev_i32_e32 v7, 31, v6
	s_mov_b32 s0, 0
	v_lshlrev_b64 v[8:9], 2, v[6:7]
	v_lshlrev_b64 v[11:12], 3, v[6:7]
	v_add_co_u32 v8, vcc_lo, s10, v8
	v_add_co_ci_u32_e64 v9, null, s11, v9, vcc_lo
	v_add_co_u32 v11, vcc_lo, s12, v11
	v_add_co_ci_u32_e64 v12, null, s13, v12, vcc_lo
	global_load_dword v8, v[8:9], off
	s_waitcnt vmcnt(0)
	v_subrev_nc_u32_e32 v8, s2, v8
	v_ashrrev_i32_e32 v9, 31, v8
	v_lshlrev_b64 v[9:10], 2, v[8:9]
	v_add_co_u32 v13, vcc_lo, s8, v9
	v_add_co_ci_u32_e64 v14, null, s9, v10, vcc_lo
	v_add_co_u32 v21, vcc_lo, s14, v9
	v_add_co_ci_u32_e64 v22, null, s15, v10, vcc_lo
	global_load_dwordx2 v[7:8], v[11:12], off
	global_load_dword v13, v[13:14], off offset:4
	global_load_dword v14, v[21:22], off
	v_add_co_u32 v9, vcc_lo, s16, v9
	v_add_co_ci_u32_e64 v10, null, s17, v10, vcc_lo
.LBB33_39:                              ;   Parent Loop BB33_38 Depth=1
                                        ; =>  This Inner Loop Header: Depth=2
	global_load_dword v21, v[9:10], off glc dlc
	s_waitcnt vmcnt(0)
	v_cmp_ne_u32_e32 vcc_lo, 0, v21
	s_or_b32 s0, vcc_lo, s0
	s_andn2_b32 exec_lo, exec_lo, s0
	s_cbranch_execnz .LBB33_39
; %bb.40:                               ;   in Loop: Header=BB33_38 Depth=1
	s_or_b32 exec_lo, exec_lo, s0
	v_subrev_nc_u32_e32 v21, s2, v13
	v_cmp_eq_u32_e32 vcc_lo, -1, v14
	buffer_gl1_inv
	buffer_gl0_inv
	s_mov_b32 s18, -1
	v_add_nc_u32_e32 v9, -1, v21
	v_cndmask_b32_e32 v9, v14, v9, vcc_lo
	v_ashrrev_i32_e32 v10, 31, v9
	v_lshlrev_b64 v[13:14], 3, v[9:10]
	v_add_co_u32 v13, vcc_lo, s12, v13
	v_add_co_ci_u32_e64 v14, null, s13, v14, vcc_lo
	global_load_dwordx2 v[13:14], v[13:14], off
	s_waitcnt vmcnt(0)
	v_cmp_neq_f32_e32 vcc_lo, 0, v13
	v_cmp_neq_f32_e64 s0, 0, v14
	s_or_b32 s19, vcc_lo, s0
	s_and_saveexec_b32 s0, s19
	s_cbranch_execz .LBB33_37
; %bb.41:                               ;   in Loop: Header=BB33_38 Depth=1
	v_mul_f32_e32 v10, v14, v14
	s_mov_b32 s18, exec_lo
	v_fmac_f32_e32 v10, v13, v13
	v_div_scale_f32 v22, null, v10, v10, 1.0
	v_div_scale_f32 v25, vcc_lo, 1.0, v10, 1.0
	v_rcp_f32_e32 v23, v22
	v_fma_f32 v24, -v22, v23, 1.0
	v_fmac_f32_e32 v23, v24, v23
	v_mul_f32_e32 v24, v25, v23
	v_fma_f32 v26, -v22, v24, v25
	v_fmac_f32_e32 v24, v26, v23
	v_fma_f32 v22, -v22, v24, v25
	v_mul_f32_e32 v25, v8, v14
	v_mul_f32_e64 v14, v14, -v7
	v_div_fmas_f32 v22, v22, v23, v24
	v_fmac_f32_e32 v25, v7, v13
	v_fmac_f32_e32 v14, v8, v13
	v_add_nc_u32_e32 v7, v20, v9
	v_div_fixup_f32 v10, v22, v10, 1.0
	v_mul_f32_e32 v9, v25, v10
	v_mul_f32_e32 v10, v14, v10
	global_store_dwordx2 v[11:12], v[9:10], off
	v_cmpx_lt_i32_e64 v7, v21
	s_cbranch_execz .LBB33_36
; %bb.42:                               ;   in Loop: Header=BB33_38 Depth=1
	s_mov_b32 s19, 0
	s_branch .LBB33_44
.LBB33_43:                              ;   in Loop: Header=BB33_44 Depth=2
	s_or_b32 exec_lo, exec_lo, s26
	v_add_nc_u32_e32 v7, 64, v7
	v_cmp_ge_i32_e32 vcc_lo, v7, v21
	s_or_b32 s19, vcc_lo, s19
	s_andn2_b32 exec_lo, exec_lo, s19
	s_cbranch_execz .LBB33_36
.LBB33_44:                              ;   Parent Loop BB33_38 Depth=1
                                        ; =>  This Loop Header: Depth=2
                                        ;       Child Loop BB33_53 Depth 3
	v_ashrrev_i32_e32 v8, 31, v7
	s_mov_b32 s26, 0
                                        ; implicit-def: $sgpr27
                                        ; implicit-def: $sgpr28
                                        ; implicit-def: $sgpr29
	v_lshlrev_b64 v[11:12], 2, v[7:8]
	v_add_co_u32 v11, vcc_lo, s10, v11
	v_add_co_ci_u32_e64 v12, null, s11, v12, vcc_lo
	global_load_dword v11, v[11:12], off
	v_mov_b32_e32 v12, 64
	s_waitcnt vmcnt(0)
	v_mul_lo_u32 v14, v11, 39
	s_branch .LBB33_53
.LBB33_45:                              ;   in Loop: Header=BB33_53 Depth=3
	s_or_b32 exec_lo, exec_lo, s40
	s_orn2_b32 s38, s38, exec_lo
	s_orn2_b32 s39, s39, exec_lo
.LBB33_46:                              ;   in Loop: Header=BB33_53 Depth=3
	s_or_b32 exec_lo, exec_lo, s37
	s_and_b32 s38, s38, exec_lo
	s_orn2_b32 s37, s39, exec_lo
.LBB33_47:                              ;   in Loop: Header=BB33_53 Depth=3
	s_or_b32 exec_lo, exec_lo, s36
	s_orn2_b32 s36, s38, exec_lo
	s_orn2_b32 s37, s37, exec_lo
.LBB33_48:                              ;   in Loop: Header=BB33_53 Depth=3
	s_or_b32 exec_lo, exec_lo, s35
	s_and_b32 s36, s36, exec_lo
	s_orn2_b32 s35, s37, exec_lo
.LBB33_49:                              ;   in Loop: Header=BB33_53 Depth=3
	s_or_b32 exec_lo, exec_lo, s34
	s_orn2_b32 s34, s36, exec_lo
	s_orn2_b32 s35, s35, exec_lo
.LBB33_50:                              ;   in Loop: Header=BB33_53 Depth=3
	s_or_b32 exec_lo, exec_lo, s33
	s_and_b32 s34, s34, exec_lo
	s_orn2_b32 s33, s35, exec_lo
.LBB33_51:                              ;   in Loop: Header=BB33_53 Depth=3
	s_or_b32 exec_lo, exec_lo, s31
	s_andn2_b32 s29, s29, exec_lo
	s_and_b32 s31, s34, exec_lo
	s_andn2_b32 s28, s28, exec_lo
	s_and_b32 s33, s33, exec_lo
	s_or_b32 s29, s29, s31
	s_or_b32 s28, s28, s33
.LBB33_52:                              ;   in Loop: Header=BB33_53 Depth=3
	s_or_b32 exec_lo, exec_lo, s30
	s_and_b32 s30, exec_lo, s28
	s_or_b32 s26, s30, s26
	s_andn2_b32 s27, s27, exec_lo
	s_and_b32 s30, s29, exec_lo
	s_or_b32 s27, s27, s30
	s_andn2_b32 exec_lo, exec_lo, s26
	s_cbranch_execz .LBB33_62
.LBB33_53:                              ;   Parent Loop BB33_38 Depth=1
                                        ;     Parent Loop BB33_44 Depth=2
                                        ; =>    This Inner Loop Header: Depth=3
	v_and_b32_e32 v13, 63, v14
	s_or_b32 s29, s29, exec_lo
	s_or_b32 s28, s28, exec_lo
	s_mov_b32 s30, exec_lo
	v_lshl_add_u32 v22, v13, 2, v18
	ds_read_b32 v22, v22
	s_waitcnt lgkmcnt(0)
	v_cmpx_ne_u32_e32 -1, v22
	s_cbranch_execz .LBB33_52
; %bb.54:                               ;   in Loop: Header=BB33_53 Depth=3
	s_mov_b32 s33, -1
	s_mov_b32 s34, 0
	s_mov_b32 s31, exec_lo
	v_cmpx_ne_u32_e64 v22, v11
	s_cbranch_execz .LBB33_51
; %bb.55:                               ;   in Loop: Header=BB33_53 Depth=3
	v_add_nc_u32_e32 v13, 1, v14
	s_mov_b32 s35, -1
	s_mov_b32 s34, -1
	s_mov_b32 s33, exec_lo
	v_and_b32_e32 v13, 63, v13
	v_lshl_add_u32 v22, v13, 2, v18
	ds_read_b32 v22, v22
	s_waitcnt lgkmcnt(0)
	v_cmpx_ne_u32_e32 -1, v22
	s_cbranch_execz .LBB33_50
; %bb.56:                               ;   in Loop: Header=BB33_53 Depth=3
	s_mov_b32 s36, 0
	s_mov_b32 s34, exec_lo
	v_cmpx_ne_u32_e64 v22, v11
	s_cbranch_execz .LBB33_49
; %bb.57:                               ;   in Loop: Header=BB33_53 Depth=3
	v_add_nc_u32_e32 v13, 2, v14
	s_mov_b32 s37, -1
	s_mov_b32 s36, -1
	s_mov_b32 s35, exec_lo
	v_and_b32_e32 v13, 63, v13
	v_lshl_add_u32 v22, v13, 2, v18
	ds_read_b32 v22, v22
	s_waitcnt lgkmcnt(0)
	v_cmpx_ne_u32_e32 -1, v22
	s_cbranch_execz .LBB33_48
; %bb.58:                               ;   in Loop: Header=BB33_53 Depth=3
	s_mov_b32 s38, 0
	s_mov_b32 s36, exec_lo
	v_cmpx_ne_u32_e64 v22, v11
	s_cbranch_execz .LBB33_47
; %bb.59:                               ;   in Loop: Header=BB33_53 Depth=3
	v_add_nc_u32_e32 v13, 3, v14
	s_mov_b32 s39, -1
	s_mov_b32 s38, -1
	s_mov_b32 s37, exec_lo
	v_and_b32_e32 v13, 63, v13
	v_lshl_add_u32 v14, v13, 2, v18
	ds_read_b32 v22, v14
                                        ; implicit-def: $vgpr14
	s_waitcnt lgkmcnt(0)
	v_cmpx_ne_u32_e32 -1, v22
	s_cbranch_execz .LBB33_46
; %bb.60:                               ;   in Loop: Header=BB33_53 Depth=3
	s_mov_b32 s38, 0
	s_mov_b32 s40, exec_lo
                                        ; implicit-def: $vgpr14
	v_cmpx_ne_u32_e64 v22, v11
	s_cbranch_execz .LBB33_45
; %bb.61:                               ;   in Loop: Header=BB33_53 Depth=3
	v_add_nc_u32_e32 v12, -4, v12
	v_add_nc_u32_e32 v14, 1, v13
	s_mov_b32 s38, exec_lo
	v_cmp_eq_u32_e32 vcc_lo, 0, v12
	s_orn2_b32 s39, vcc_lo, exec_lo
	s_branch .LBB33_45
.LBB33_62:                              ;   in Loop: Header=BB33_44 Depth=2
	s_or_b32 exec_lo, exec_lo, s26
	s_xor_b32 s26, s27, -1
	s_and_saveexec_b32 s27, s26
	s_xor_b32 s26, exec_lo, s27
	s_cbranch_execz .LBB33_43
; %bb.63:                               ;   in Loop: Header=BB33_44 Depth=2
	v_lshl_add_u32 v11, v13, 2, v19
	v_lshlrev_b64 v[13:14], 3, v[7:8]
	ds_read_b32 v11, v11
	v_add_co_u32 v13, vcc_lo, s12, v13
	v_add_co_ci_u32_e64 v14, null, s13, v14, vcc_lo
	s_waitcnt lgkmcnt(0)
	v_ashrrev_i32_e32 v12, 31, v11
	v_lshlrev_b64 v[11:12], 3, v[11:12]
	v_add_co_u32 v11, vcc_lo, s12, v11
	v_add_co_ci_u32_e64 v12, null, s13, v12, vcc_lo
	s_clause 0x1
	global_load_dwordx2 v[13:14], v[13:14], off
	global_load_dwordx2 v[22:23], v[11:12], off
	s_waitcnt vmcnt(0)
	v_fma_f32 v22, -v9, v13, v22
	v_fma_f32 v8, -v10, v13, v23
	v_fmac_f32_e32 v22, v10, v14
	v_fma_f32 v23, -v9, v14, v8
	global_store_dwordx2 v[11:12], v[22:23], off
	s_branch .LBB33_43
.LBB33_64:
	s_or_b32 exec_lo, exec_lo, s6
	s_mov_b32 s6, exec_lo
	s_waitcnt_vscnt null, 0x0
	buffer_gl0_inv
	v_cmpx_lt_i32_e32 -1, v5
	s_cbranch_execz .LBB33_86
; %bb.65:
	v_mov_b32_e32 v6, 0
	s_mov_b32 s0, exec_lo
	v_lshlrev_b64 v[7:8], 3, v[5:6]
	v_add_co_u32 v9, vcc_lo, s12, v7
	v_add_co_ci_u32_e64 v10, null, s13, v8, vcc_lo
	global_load_dwordx2 v[7:8], v[9:10], off
	s_waitcnt vmcnt(0)
	v_cmp_gt_f32_e32 vcc_lo, 0, v7
	v_cndmask_b32_e64 v5, v7, -v7, vcc_lo
	v_cmp_gt_f32_e32 vcc_lo, 0, v8
	v_cndmask_b32_e64 v11, v8, -v8, vcc_lo
	v_cmpx_ngt_f32_e32 v5, v11
	s_xor_b32 s7, exec_lo, s0
	s_cbranch_execz .LBB33_69
; %bb.66:
	s_mov_b32 s8, exec_lo
	v_cmpx_neq_f32_e32 0, v8
	s_cbranch_execz .LBB33_68
; %bb.67:
	v_div_scale_f32 v6, null, v11, v11, v5
	v_div_scale_f32 v14, vcc_lo, v5, v11, v5
	v_rcp_f32_e32 v12, v6
	v_fma_f32 v13, -v6, v12, 1.0
	v_fmac_f32_e32 v12, v13, v12
	v_mul_f32_e32 v13, v14, v12
	v_fma_f32 v18, -v6, v13, v14
	v_fmac_f32_e32 v13, v18, v12
	v_fma_f32 v6, -v6, v13, v14
	v_div_fmas_f32 v6, v6, v12, v13
	v_div_fixup_f32 v5, v6, v11, v5
	v_fma_f32 v5, v5, v5, 1.0
	v_mul_f32_e32 v6, 0x4f800000, v5
	v_cmp_gt_f32_e32 vcc_lo, 0xf800000, v5
	v_cndmask_b32_e32 v5, v5, v6, vcc_lo
	v_sqrt_f32_e32 v6, v5
	v_add_nc_u32_e32 v12, -1, v6
	v_add_nc_u32_e32 v13, 1, v6
	v_fma_f32 v14, -v12, v6, v5
	v_fma_f32 v18, -v13, v6, v5
	v_cmp_ge_f32_e64 s0, 0, v14
	v_cndmask_b32_e64 v6, v6, v12, s0
	v_cmp_lt_f32_e64 s0, 0, v18
	v_cndmask_b32_e64 v6, v6, v13, s0
	v_mul_f32_e32 v12, 0x37800000, v6
	v_cndmask_b32_e32 v6, v6, v12, vcc_lo
	v_cmp_class_f32_e64 vcc_lo, v5, 0x260
	v_cndmask_b32_e32 v5, v6, v5, vcc_lo
	v_mul_f32_e32 v6, v11, v5
.LBB33_68:
	s_or_b32 exec_lo, exec_lo, s8
                                        ; implicit-def: $vgpr5
                                        ; implicit-def: $vgpr11
.LBB33_69:
	s_andn2_saveexec_b32 s7, s7
	s_cbranch_execz .LBB33_71
; %bb.70:
	v_div_scale_f32 v6, null, v5, v5, v11
	v_div_scale_f32 v14, vcc_lo, v11, v5, v11
	v_rcp_f32_e32 v12, v6
	v_fma_f32 v13, -v6, v12, 1.0
	v_fmac_f32_e32 v12, v13, v12
	v_mul_f32_e32 v13, v14, v12
	v_fma_f32 v18, -v6, v13, v14
	v_fmac_f32_e32 v13, v18, v12
	v_fma_f32 v6, -v6, v13, v14
	v_div_fmas_f32 v6, v6, v12, v13
	v_div_fixup_f32 v6, v6, v5, v11
	v_fma_f32 v6, v6, v6, 1.0
	v_mul_f32_e32 v11, 0x4f800000, v6
	v_cmp_gt_f32_e32 vcc_lo, 0xf800000, v6
	v_cndmask_b32_e32 v6, v6, v11, vcc_lo
	v_sqrt_f32_e32 v11, v6
	v_add_nc_u32_e32 v12, -1, v11
	v_add_nc_u32_e32 v13, 1, v11
	v_fma_f32 v14, -v12, v11, v6
	v_fma_f32 v18, -v13, v11, v6
	v_cmp_ge_f32_e64 s0, 0, v14
	v_cndmask_b32_e64 v11, v11, v12, s0
	v_cmp_lt_f32_e64 s0, 0, v18
	v_cndmask_b32_e64 v11, v11, v13, s0
	v_mul_f32_e32 v12, 0x37800000, v11
	v_cndmask_b32_e32 v11, v11, v12, vcc_lo
	v_cmp_class_f32_e64 vcc_lo, v6, 0x260
	v_cndmask_b32_e32 v6, v11, v6, vcc_lo
	v_mul_f32_e32 v6, v5, v6
.LBB33_71:
	s_or_b32 exec_lo, exec_lo, s7
	v_cvt_f64_f32_e32 v[5:6], v6
	v_cmp_ne_u32_e32 vcc_lo, 1, v17
	v_cmp_eq_u32_e64 s0, 0, v15
	s_mov_b32 s7, -1
	s_cbranch_vccnz .LBB33_75
; %bb.72:
	v_cvt_f64_f32_e32 v[11:12], v16
	s_cmp_eq_u64 s[24:25], 8
	s_cselect_b32 vcc_lo, -1, 0
	v_cndmask_b32_e32 v3, v12, v3, vcc_lo
	v_cndmask_b32_e32 v2, v11, v2, vcc_lo
	v_cmp_ge_f64_e32 vcc_lo, v[2:3], v[5:6]
	s_and_b32 s8, s0, vcc_lo
	s_and_saveexec_b32 s7, s8
	s_cbranch_execz .LBB33_74
; %bb.73:
	v_mov_b32_e32 v2, s1
	v_mov_b32_e32 v3, s3
	global_store_dwordx2 v[9:10], v[2:3], off
	s_waitcnt_vscnt null, 0x0
	buffer_gl1_inv
	buffer_gl0_inv
.LBB33_74:
	s_or_b32 exec_lo, exec_lo, s7
	s_mov_b32 s7, 0
.LBB33_75:
	s_andn2_b32 vcc_lo, exec_lo, s7
	s_cbranch_vccnz .LBB33_86
; %bb.76:
	s_load_dwordx2 s[4:5], s[4:5], 0x48
	v_add_nc_u32_e32 v2, s2, v4
	s_waitcnt lgkmcnt(0)
	v_cmp_ge_f64_e32 vcc_lo, s[4:5], v[5:6]
	s_and_b32 s2, s0, vcc_lo
	s_and_saveexec_b32 s1, s2
	s_cbranch_execz .LBB33_81
; %bb.77:
	s_mov_b32 s3, exec_lo
	s_brev_b32 s2, -2
.LBB33_78:                              ; =>This Inner Loop Header: Depth=1
	s_ff1_i32_b32 s4, s3
	v_readlane_b32 s5, v2, s4
	s_lshl_b32 s4, 1, s4
	s_andn2_b32 s3, s3, s4
	s_min_i32 s2, s2, s5
	s_cmp_lg_u32 s3, 0
	s_cbranch_scc1 .LBB33_78
; %bb.79:
	v_mbcnt_lo_u32_b32 v3, exec_lo, 0
	s_mov_b32 s3, exec_lo
	v_cmpx_eq_u32_e32 0, v3
	s_xor_b32 s3, exec_lo, s3
	s_cbranch_execz .LBB33_81
; %bb.80:
	v_mov_b32_e32 v3, 0
	v_mov_b32_e32 v4, s2
	global_atomic_smin v3, v4, s[22:23]
.LBB33_81:
	s_or_b32 exec_lo, exec_lo, s1
	v_cmp_eq_f32_e32 vcc_lo, 0, v7
	v_cmp_eq_f32_e64 s1, 0, v8
	s_and_b32 s1, vcc_lo, s1
	s_and_b32 s0, s0, s1
	s_and_b32 exec_lo, exec_lo, s0
	s_cbranch_execz .LBB33_86
; %bb.82:
	s_mov_b32 s1, exec_lo
	s_brev_b32 s0, -2
.LBB33_83:                              ; =>This Inner Loop Header: Depth=1
	s_ff1_i32_b32 s2, s1
	v_readlane_b32 s3, v2, s2
	s_lshl_b32 s2, 1, s2
	s_andn2_b32 s1, s1, s2
	s_min_i32 s0, s0, s3
	s_cmp_lg_u32 s1, 0
	s_cbranch_scc1 .LBB33_83
; %bb.84:
	v_mbcnt_lo_u32_b32 v2, exec_lo, 0
	s_mov_b32 s1, exec_lo
	v_cmpx_eq_u32_e32 0, v2
	s_xor_b32 s1, exec_lo, s1
	s_cbranch_execz .LBB33_86
; %bb.85:
	v_mov_b32_e32 v2, 0
	v_mov_b32_e32 v3, s0
	global_atomic_smin v2, v3, s[20:21]
.LBB33_86:
	s_or_b32 exec_lo, exec_lo, s6
	v_cmp_eq_u32_e32 vcc_lo, 0, v15
	s_waitcnt_vscnt null, 0x0
	buffer_gl1_inv
	buffer_gl0_inv
	s_and_b32 exec_lo, exec_lo, vcc_lo
	s_cbranch_execz .LBB33_88
; %bb.87:
	v_add_co_u32 v0, vcc_lo, s16, v0
	v_add_co_ci_u32_e64 v1, null, s17, v1, vcc_lo
	v_mov_b32_e32 v2, 1
	global_store_dword v[0:1], v2, off
.LBB33_88:
	s_endpgm
	.section	.rodata,"a",@progbits
	.p2align	6, 0x0
	.amdhsa_kernel _ZN9rocsparseL12csrilu0_hashILj256ELj64ELj1E21rocsparse_complex_numIfEEEviPKiS4_PT2_S4_PiS4_S7_S7_d21rocsparse_index_base_imNS_24const_host_device_scalarIfEENS9_IdEENS9_IS5_EEb
		.amdhsa_group_segment_fixed_size 2048
		.amdhsa_private_segment_fixed_size 0
		.amdhsa_kernarg_size 124
		.amdhsa_user_sgpr_count 6
		.amdhsa_user_sgpr_private_segment_buffer 1
		.amdhsa_user_sgpr_dispatch_ptr 0
		.amdhsa_user_sgpr_queue_ptr 0
		.amdhsa_user_sgpr_kernarg_segment_ptr 1
		.amdhsa_user_sgpr_dispatch_id 0
		.amdhsa_user_sgpr_flat_scratch_init 0
		.amdhsa_user_sgpr_private_segment_size 0
		.amdhsa_wavefront_size32 1
		.amdhsa_uses_dynamic_stack 0
		.amdhsa_system_sgpr_private_segment_wavefront_offset 0
		.amdhsa_system_sgpr_workgroup_id_x 1
		.amdhsa_system_sgpr_workgroup_id_y 0
		.amdhsa_system_sgpr_workgroup_id_z 0
		.amdhsa_system_sgpr_workgroup_info 0
		.amdhsa_system_vgpr_workitem_id 0
		.amdhsa_next_free_vgpr 27
		.amdhsa_next_free_sgpr 41
		.amdhsa_reserve_vcc 1
		.amdhsa_reserve_flat_scratch 0
		.amdhsa_float_round_mode_32 0
		.amdhsa_float_round_mode_16_64 0
		.amdhsa_float_denorm_mode_32 3
		.amdhsa_float_denorm_mode_16_64 3
		.amdhsa_dx10_clamp 1
		.amdhsa_ieee_mode 1
		.amdhsa_fp16_overflow 0
		.amdhsa_workgroup_processor_mode 1
		.amdhsa_memory_ordered 1
		.amdhsa_forward_progress 1
		.amdhsa_shared_vgpr_count 0
		.amdhsa_exception_fp_ieee_invalid_op 0
		.amdhsa_exception_fp_denorm_src 0
		.amdhsa_exception_fp_ieee_div_zero 0
		.amdhsa_exception_fp_ieee_overflow 0
		.amdhsa_exception_fp_ieee_underflow 0
		.amdhsa_exception_fp_ieee_inexact 0
		.amdhsa_exception_int_div_zero 0
	.end_amdhsa_kernel
	.section	.text._ZN9rocsparseL12csrilu0_hashILj256ELj64ELj1E21rocsparse_complex_numIfEEEviPKiS4_PT2_S4_PiS4_S7_S7_d21rocsparse_index_base_imNS_24const_host_device_scalarIfEENS9_IdEENS9_IS5_EEb,"axG",@progbits,_ZN9rocsparseL12csrilu0_hashILj256ELj64ELj1E21rocsparse_complex_numIfEEEviPKiS4_PT2_S4_PiS4_S7_S7_d21rocsparse_index_base_imNS_24const_host_device_scalarIfEENS9_IdEENS9_IS5_EEb,comdat
.Lfunc_end33:
	.size	_ZN9rocsparseL12csrilu0_hashILj256ELj64ELj1E21rocsparse_complex_numIfEEEviPKiS4_PT2_S4_PiS4_S7_S7_d21rocsparse_index_base_imNS_24const_host_device_scalarIfEENS9_IdEENS9_IS5_EEb, .Lfunc_end33-_ZN9rocsparseL12csrilu0_hashILj256ELj64ELj1E21rocsparse_complex_numIfEEEviPKiS4_PT2_S4_PiS4_S7_S7_d21rocsparse_index_base_imNS_24const_host_device_scalarIfEENS9_IdEENS9_IS5_EEb
                                        ; -- End function
	.set _ZN9rocsparseL12csrilu0_hashILj256ELj64ELj1E21rocsparse_complex_numIfEEEviPKiS4_PT2_S4_PiS4_S7_S7_d21rocsparse_index_base_imNS_24const_host_device_scalarIfEENS9_IdEENS9_IS5_EEb.num_vgpr, 27
	.set _ZN9rocsparseL12csrilu0_hashILj256ELj64ELj1E21rocsparse_complex_numIfEEEviPKiS4_PT2_S4_PiS4_S7_S7_d21rocsparse_index_base_imNS_24const_host_device_scalarIfEENS9_IdEENS9_IS5_EEb.num_agpr, 0
	.set _ZN9rocsparseL12csrilu0_hashILj256ELj64ELj1E21rocsparse_complex_numIfEEEviPKiS4_PT2_S4_PiS4_S7_S7_d21rocsparse_index_base_imNS_24const_host_device_scalarIfEENS9_IdEENS9_IS5_EEb.numbered_sgpr, 41
	.set _ZN9rocsparseL12csrilu0_hashILj256ELj64ELj1E21rocsparse_complex_numIfEEEviPKiS4_PT2_S4_PiS4_S7_S7_d21rocsparse_index_base_imNS_24const_host_device_scalarIfEENS9_IdEENS9_IS5_EEb.num_named_barrier, 0
	.set _ZN9rocsparseL12csrilu0_hashILj256ELj64ELj1E21rocsparse_complex_numIfEEEviPKiS4_PT2_S4_PiS4_S7_S7_d21rocsparse_index_base_imNS_24const_host_device_scalarIfEENS9_IdEENS9_IS5_EEb.private_seg_size, 0
	.set _ZN9rocsparseL12csrilu0_hashILj256ELj64ELj1E21rocsparse_complex_numIfEEEviPKiS4_PT2_S4_PiS4_S7_S7_d21rocsparse_index_base_imNS_24const_host_device_scalarIfEENS9_IdEENS9_IS5_EEb.uses_vcc, 1
	.set _ZN9rocsparseL12csrilu0_hashILj256ELj64ELj1E21rocsparse_complex_numIfEEEviPKiS4_PT2_S4_PiS4_S7_S7_d21rocsparse_index_base_imNS_24const_host_device_scalarIfEENS9_IdEENS9_IS5_EEb.uses_flat_scratch, 0
	.set _ZN9rocsparseL12csrilu0_hashILj256ELj64ELj1E21rocsparse_complex_numIfEEEviPKiS4_PT2_S4_PiS4_S7_S7_d21rocsparse_index_base_imNS_24const_host_device_scalarIfEENS9_IdEENS9_IS5_EEb.has_dyn_sized_stack, 0
	.set _ZN9rocsparseL12csrilu0_hashILj256ELj64ELj1E21rocsparse_complex_numIfEEEviPKiS4_PT2_S4_PiS4_S7_S7_d21rocsparse_index_base_imNS_24const_host_device_scalarIfEENS9_IdEENS9_IS5_EEb.has_recursion, 0
	.set _ZN9rocsparseL12csrilu0_hashILj256ELj64ELj1E21rocsparse_complex_numIfEEEviPKiS4_PT2_S4_PiS4_S7_S7_d21rocsparse_index_base_imNS_24const_host_device_scalarIfEENS9_IdEENS9_IS5_EEb.has_indirect_call, 0
	.section	.AMDGPU.csdata,"",@progbits
; Kernel info:
; codeLenInByte = 3176
; TotalNumSgprs: 43
; NumVgprs: 27
; ScratchSize: 0
; MemoryBound: 0
; FloatMode: 240
; IeeeMode: 1
; LDSByteSize: 2048 bytes/workgroup (compile time only)
; SGPRBlocks: 0
; VGPRBlocks: 3
; NumSGPRsForWavesPerEU: 43
; NumVGPRsForWavesPerEU: 27
; Occupancy: 16
; WaveLimiterHint : 1
; COMPUTE_PGM_RSRC2:SCRATCH_EN: 0
; COMPUTE_PGM_RSRC2:USER_SGPR: 6
; COMPUTE_PGM_RSRC2:TRAP_HANDLER: 0
; COMPUTE_PGM_RSRC2:TGID_X_EN: 1
; COMPUTE_PGM_RSRC2:TGID_Y_EN: 0
; COMPUTE_PGM_RSRC2:TGID_Z_EN: 0
; COMPUTE_PGM_RSRC2:TIDIG_COMP_CNT: 0
	.section	.text._ZN9rocsparseL12csrilu0_hashILj256ELj64ELj2E21rocsparse_complex_numIfEEEviPKiS4_PT2_S4_PiS4_S7_S7_d21rocsparse_index_base_imNS_24const_host_device_scalarIfEENS9_IdEENS9_IS5_EEb,"axG",@progbits,_ZN9rocsparseL12csrilu0_hashILj256ELj64ELj2E21rocsparse_complex_numIfEEEviPKiS4_PT2_S4_PiS4_S7_S7_d21rocsparse_index_base_imNS_24const_host_device_scalarIfEENS9_IdEENS9_IS5_EEb,comdat
	.globl	_ZN9rocsparseL12csrilu0_hashILj256ELj64ELj2E21rocsparse_complex_numIfEEEviPKiS4_PT2_S4_PiS4_S7_S7_d21rocsparse_index_base_imNS_24const_host_device_scalarIfEENS9_IdEENS9_IS5_EEb ; -- Begin function _ZN9rocsparseL12csrilu0_hashILj256ELj64ELj2E21rocsparse_complex_numIfEEEviPKiS4_PT2_S4_PiS4_S7_S7_d21rocsparse_index_base_imNS_24const_host_device_scalarIfEENS9_IdEENS9_IS5_EEb
	.p2align	8
	.type	_ZN9rocsparseL12csrilu0_hashILj256ELj64ELj2E21rocsparse_complex_numIfEEEviPKiS4_PT2_S4_PiS4_S7_S7_d21rocsparse_index_base_imNS_24const_host_device_scalarIfEENS9_IdEENS9_IS5_EEb,@function
_ZN9rocsparseL12csrilu0_hashILj256ELj64ELj2E21rocsparse_complex_numIfEEEviPKiS4_PT2_S4_PiS4_S7_S7_d21rocsparse_index_base_imNS_24const_host_device_scalarIfEENS9_IdEENS9_IS5_EEb: ; @_ZN9rocsparseL12csrilu0_hashILj256ELj64ELj2E21rocsparse_complex_numIfEEEviPKiS4_PT2_S4_PiS4_S7_S7_d21rocsparse_index_base_imNS_24const_host_device_scalarIfEENS9_IdEENS9_IS5_EEb
; %bb.0:
	s_clause 0x2
	s_load_dword s0, s[4:5], 0x78
	s_load_dwordx2 s[2:3], s[4:5], 0x50
	s_load_dwordx8 s[24:31], s[4:5], 0x58
	s_waitcnt lgkmcnt(0)
	s_bitcmp1_b32 s0, 0
	s_cselect_b32 s7, -1, 0
	s_cmp_eq_u32 s3, 0
	s_cselect_b32 s9, -1, 0
	s_cmp_lg_u32 s3, 0
	s_cselect_b32 s3, -1, 0
	s_or_b32 s10, s9, s7
	s_xor_b32 s8, s10, -1
	s_and_b32 s0, s9, exec_lo
	s_cselect_b32 s1, 0, s29
	s_cselect_b32 s0, 0, s28
	s_and_b32 vcc_lo, exec_lo, s10
	s_cbranch_vccnz .LBB34_2
; %bb.1:
	s_load_dword s0, s[26:27], 0x0
	s_waitcnt lgkmcnt(0)
	v_mov_b32_e32 v17, s0
	s_mov_b64 s[0:1], s[28:29]
	v_mov_b32_e32 v4, s1
	v_mov_b32_e32 v3, s0
	s_andn2_b32 vcc_lo, exec_lo, s8
	s_cbranch_vccz .LBB34_3
	s_branch .LBB34_4
.LBB34_2:
	v_cndmask_b32_e64 v17, s26, 0, s9
	v_mov_b32_e32 v4, s1
	v_mov_b32_e32 v3, s0
	s_andn2_b32 vcc_lo, exec_lo, s8
	s_cbranch_vccnz .LBB34_4
.LBB34_3:
	v_mov_b32_e32 v1, s28
	v_mov_b32_e32 v2, s29
	flat_load_dwordx2 v[3:4], v[1:2]
.LBB34_4:
	v_cndmask_b32_e64 v18, 0, 1, s3
	s_mov_b32 s1, 0
	s_andn2_b32 vcc_lo, exec_lo, s3
	s_mov_b32 s3, 0
	s_cbranch_vccnz .LBB34_10
; %bb.5:
	s_xor_b32 s0, s7, -1
	s_mov_b32 s1, s30
	v_cndmask_b32_e64 v1, 0, 1, s0
	s_andn2_b32 vcc_lo, exec_lo, s0
	s_cbranch_vccnz .LBB34_7
; %bb.6:
	s_load_dword s1, s[30:31], 0x0
.LBB34_7:
	v_cmp_ne_u32_e32 vcc_lo, 1, v1
	s_cbranch_vccnz .LBB34_9
; %bb.8:
	s_load_dword s31, s[30:31], 0x4
.LBB34_9:
	s_waitcnt lgkmcnt(0)
	s_mov_b32 s3, s31
.LBB34_10:
	v_lshrrev_b32_e32 v1, 6, v0
	v_and_b32_e32 v16, 63, v0
	s_mov_b32 s0, 0
	v_lshlrev_b32_e32 v5, 9, v1
	v_lshlrev_b32_e32 v6, 2, v16
	v_or_b32_e32 v2, 0xffffffc0, v16
	v_or3_b32 v5, v5, v6, 0x800
	v_mov_b32_e32 v6, -1
.LBB34_11:                              ; =>This Inner Loop Header: Depth=1
	v_add_co_u32 v2, s7, v2, 64
	s_xor_b32 s7, s7, -1
	ds_write_b32 v5, v6
	v_add_nc_u32_e32 v5, 0x100, v5
	s_and_b32 s7, exec_lo, s7
	s_or_b32 s0, s7, s0
	s_andn2_b32 exec_lo, exec_lo, s0
	s_cbranch_execnz .LBB34_11
; %bb.12:
	s_or_b32 exec_lo, exec_lo, s0
	s_load_dword s0, s[4:5], 0x0
	s_lshl_b32 s6, s6, 2
	s_waitcnt vmcnt(0) lgkmcnt(0)
	buffer_gl0_inv
	v_and_or_b32 v1, 0x3fffffc, s6, v1
	v_cmp_gt_i32_e32 vcc_lo, s0, v1
	s_and_saveexec_b32 s0, vcc_lo
	s_cbranch_execz .LBB34_90
; %bb.13:
	s_load_dwordx16 s[8:23], s[4:5], 0x8
	v_lshlrev_b32_e32 v1, 2, v1
	v_lshlrev_b32_e32 v0, 3, v0
	s_mov_b32 s0, exec_lo
	v_and_b32_e32 v0, 0x600, v0
	v_or_b32_e32 v19, 0x800, v0
	s_waitcnt lgkmcnt(0)
	global_load_dword v5, v1, s[18:19]
	s_waitcnt vmcnt(0)
	v_ashrrev_i32_e32 v6, 31, v5
	v_lshlrev_b64 v[1:2], 2, v[5:6]
	v_add_co_u32 v6, vcc_lo, s8, v1
	v_add_co_ci_u32_e64 v7, null, s9, v2, vcc_lo
	v_add_co_u32 v9, vcc_lo, s14, v1
	v_add_co_ci_u32_e64 v10, null, s15, v2, vcc_lo
	global_load_dwordx2 v[7:8], v[6:7], off
	global_load_dword v6, v[9:10], off
	s_waitcnt vmcnt(1)
	v_subrev_nc_u32_e32 v7, s2, v7
	v_subrev_nc_u32_e32 v10, s2, v8
	v_add_nc_u32_e32 v8, v7, v16
	v_cmpx_lt_i32_e64 v8, v10
	s_cbranch_execz .LBB34_36
; %bb.14:
	v_mov_b32_e32 v11, -1
	s_mov_b32 s6, 0
	s_branch .LBB34_16
.LBB34_15:                              ;   in Loop: Header=BB34_16 Depth=1
	s_or_b32 exec_lo, exec_lo, s7
	v_add_nc_u32_e32 v8, 64, v8
	v_cmp_ge_i32_e32 vcc_lo, v8, v10
	s_or_b32 s6, vcc_lo, s6
	s_andn2_b32 exec_lo, exec_lo, s6
	s_cbranch_execz .LBB34_36
.LBB34_16:                              ; =>This Loop Header: Depth=1
                                        ;     Child Loop BB34_25 Depth 2
	v_ashrrev_i32_e32 v9, 31, v8
	s_mov_b32 s7, 0
                                        ; implicit-def: $sgpr18
                                        ; implicit-def: $sgpr19
                                        ; implicit-def: $sgpr26
	v_lshlrev_b64 v[12:13], 2, v[8:9]
	v_add_co_u32 v12, vcc_lo, s10, v12
	v_add_co_ci_u32_e64 v13, null, s11, v13, vcc_lo
	global_load_dword v9, v[12:13], off
	v_mov_b32_e32 v12, 0x80
	s_waitcnt vmcnt(0)
	v_mul_lo_u32 v14, 0x67, v9
	s_branch .LBB34_25
.LBB34_17:                              ;   in Loop: Header=BB34_25 Depth=2
	s_or_b32 exec_lo, exec_lo, s37
	s_orn2_b32 s35, s35, exec_lo
	s_orn2_b32 s36, s36, exec_lo
.LBB34_18:                              ;   in Loop: Header=BB34_25 Depth=2
	s_or_b32 exec_lo, exec_lo, s34
	s_and_b32 s35, s35, exec_lo
	s_orn2_b32 s34, s36, exec_lo
.LBB34_19:                              ;   in Loop: Header=BB34_25 Depth=2
	s_or_b32 exec_lo, exec_lo, s33
	s_orn2_b32 s33, s35, exec_lo
	s_orn2_b32 s34, s34, exec_lo
.LBB34_20:                              ;   in Loop: Header=BB34_25 Depth=2
	s_or_b32 exec_lo, exec_lo, s31
	s_and_b32 s33, s33, exec_lo
	s_orn2_b32 s31, s34, exec_lo
.LBB34_21:                              ;   in Loop: Header=BB34_25 Depth=2
	s_or_b32 exec_lo, exec_lo, s30
	s_orn2_b32 s30, s33, exec_lo
	s_orn2_b32 s31, s31, exec_lo
.LBB34_22:                              ;   in Loop: Header=BB34_25 Depth=2
	s_or_b32 exec_lo, exec_lo, s29
	s_and_b32 s30, s30, exec_lo
	s_orn2_b32 s29, s31, exec_lo
.LBB34_23:                              ;   in Loop: Header=BB34_25 Depth=2
	s_or_b32 exec_lo, exec_lo, s28
	s_andn2_b32 s26, s26, exec_lo
	s_and_b32 s28, s30, exec_lo
	s_andn2_b32 s19, s19, exec_lo
	s_and_b32 s29, s29, exec_lo
	s_or_b32 s26, s26, s28
	s_or_b32 s19, s19, s29
.LBB34_24:                              ;   in Loop: Header=BB34_25 Depth=2
	s_or_b32 exec_lo, exec_lo, s27
	s_and_b32 s27, exec_lo, s19
	s_or_b32 s7, s27, s7
	s_andn2_b32 s18, s18, exec_lo
	s_and_b32 s27, s26, exec_lo
	s_or_b32 s18, s18, s27
	s_andn2_b32 exec_lo, exec_lo, s7
	s_cbranch_execz .LBB34_34
.LBB34_25:                              ;   Parent Loop BB34_16 Depth=1
                                        ; =>  This Inner Loop Header: Depth=2
	v_and_b32_e32 v13, 0x7f, v14
	s_or_b32 s26, s26, exec_lo
	s_or_b32 s19, s19, exec_lo
	s_mov_b32 s27, exec_lo
	v_lshl_add_u32 v15, v13, 2, v19
	ds_read_b32 v20, v15
	s_waitcnt lgkmcnt(0)
	v_cmpx_ne_u32_e64 v20, v9
	s_cbranch_execz .LBB34_24
; %bb.26:                               ;   in Loop: Header=BB34_25 Depth=2
	ds_cmpst_rtn_b32 v15, v15, v11, v9
	s_mov_b32 s29, -1
	s_mov_b32 s30, 0
	s_mov_b32 s28, exec_lo
	s_waitcnt lgkmcnt(0)
	v_cmpx_ne_u32_e32 -1, v15
	s_cbranch_execz .LBB34_23
; %bb.27:                               ;   in Loop: Header=BB34_25 Depth=2
	v_add_nc_u32_e32 v13, 1, v14
	s_mov_b32 s31, -1
	s_mov_b32 s30, -1
	s_mov_b32 s29, exec_lo
	v_and_b32_e32 v13, 0x7f, v13
	v_lshl_add_u32 v15, v13, 2, v19
	ds_read_b32 v20, v15
	s_waitcnt lgkmcnt(0)
	v_cmpx_ne_u32_e64 v20, v9
	s_cbranch_execz .LBB34_22
; %bb.28:                               ;   in Loop: Header=BB34_25 Depth=2
	ds_cmpst_rtn_b32 v15, v15, v11, v9
	s_mov_b32 s33, 0
	s_mov_b32 s30, exec_lo
	s_waitcnt lgkmcnt(0)
	v_cmpx_ne_u32_e32 -1, v15
	s_cbranch_execz .LBB34_21
; %bb.29:                               ;   in Loop: Header=BB34_25 Depth=2
	v_add_nc_u32_e32 v13, 2, v14
	s_mov_b32 s34, -1
	s_mov_b32 s33, -1
	s_mov_b32 s31, exec_lo
	v_and_b32_e32 v13, 0x7f, v13
	v_lshl_add_u32 v15, v13, 2, v19
	ds_read_b32 v20, v15
	s_waitcnt lgkmcnt(0)
	v_cmpx_ne_u32_e64 v20, v9
	s_cbranch_execz .LBB34_20
; %bb.30:                               ;   in Loop: Header=BB34_25 Depth=2
	ds_cmpst_rtn_b32 v15, v15, v11, v9
	s_mov_b32 s35, 0
	s_mov_b32 s33, exec_lo
	s_waitcnt lgkmcnt(0)
	v_cmpx_ne_u32_e32 -1, v15
	s_cbranch_execz .LBB34_19
; %bb.31:                               ;   in Loop: Header=BB34_25 Depth=2
	v_add_nc_u32_e32 v13, 3, v14
	s_mov_b32 s36, -1
	s_mov_b32 s35, -1
	v_and_b32_e32 v13, 0x7f, v13
	v_lshl_add_u32 v15, v13, 2, v19
	ds_read_b32 v14, v15
	s_waitcnt lgkmcnt(0)
	v_cmp_ne_u32_e32 vcc_lo, v14, v9
                                        ; implicit-def: $vgpr14
	s_and_saveexec_b32 s34, vcc_lo
	s_cbranch_execz .LBB34_18
; %bb.32:                               ;   in Loop: Header=BB34_25 Depth=2
	ds_cmpst_rtn_b32 v14, v15, v11, v9
	s_mov_b32 s35, 0
	s_waitcnt lgkmcnt(0)
	v_cmp_ne_u32_e32 vcc_lo, -1, v14
                                        ; implicit-def: $vgpr14
	s_and_saveexec_b32 s37, vcc_lo
	s_cbranch_execz .LBB34_17
; %bb.33:                               ;   in Loop: Header=BB34_25 Depth=2
	v_add_nc_u32_e32 v12, -4, v12
	v_add_nc_u32_e32 v14, 1, v13
	s_mov_b32 s35, exec_lo
	v_cmp_eq_u32_e32 vcc_lo, 0, v12
	s_orn2_b32 s36, vcc_lo, exec_lo
	s_branch .LBB34_17
.LBB34_34:                              ;   in Loop: Header=BB34_16 Depth=1
	s_or_b32 exec_lo, exec_lo, s7
	s_xor_b32 s7, s18, -1
	s_and_saveexec_b32 s18, s7
	s_xor_b32 s7, exec_lo, s18
	s_cbranch_execz .LBB34_15
; %bb.35:                               ;   in Loop: Header=BB34_16 Depth=1
	v_lshl_add_u32 v9, v13, 2, v0
	ds_write_b32 v9, v8
	s_branch .LBB34_15
.LBB34_36:
	s_or_b32 exec_lo, exec_lo, s0
	s_mov_b32 s6, exec_lo
	s_waitcnt vmcnt(0) lgkmcnt(0)
	buffer_gl0_inv
	v_cmpx_lt_i32_e64 v7, v6
	s_cbranch_execz .LBB34_66
; %bb.37:
	v_add_nc_u32_e32 v20, 1, v16
	s_mov_b32 s7, 0
	s_branch .LBB34_40
.LBB34_38:                              ;   in Loop: Header=BB34_40 Depth=1
	s_or_b32 exec_lo, exec_lo, s18
	v_add_nc_u32_e32 v7, 1, v7
	v_cmp_ge_i32_e32 vcc_lo, v7, v6
	s_orn2_b32 s18, vcc_lo, exec_lo
.LBB34_39:                              ;   in Loop: Header=BB34_40 Depth=1
	s_or_b32 exec_lo, exec_lo, s0
	s_and_b32 s0, exec_lo, s18
	s_or_b32 s7, s0, s7
	s_andn2_b32 exec_lo, exec_lo, s7
	s_cbranch_execz .LBB34_66
.LBB34_40:                              ; =>This Loop Header: Depth=1
                                        ;     Child Loop BB34_41 Depth 2
                                        ;     Child Loop BB34_46 Depth 2
                                        ;       Child Loop BB34_55 Depth 3
	v_ashrrev_i32_e32 v8, 31, v7
	s_mov_b32 s0, 0
	v_lshlrev_b64 v[9:10], 2, v[7:8]
	v_lshlrev_b64 v[12:13], 3, v[7:8]
	v_add_co_u32 v9, vcc_lo, s10, v9
	v_add_co_ci_u32_e64 v10, null, s11, v10, vcc_lo
	v_add_co_u32 v12, vcc_lo, s12, v12
	v_add_co_ci_u32_e64 v13, null, s13, v13, vcc_lo
	global_load_dword v9, v[9:10], off
	s_waitcnt vmcnt(0)
	v_subrev_nc_u32_e32 v9, s2, v9
	v_ashrrev_i32_e32 v10, 31, v9
	v_lshlrev_b64 v[10:11], 2, v[9:10]
	v_add_co_u32 v14, vcc_lo, s8, v10
	v_add_co_ci_u32_e64 v15, null, s9, v11, vcc_lo
	v_add_co_u32 v21, vcc_lo, s14, v10
	v_add_co_ci_u32_e64 v22, null, s15, v11, vcc_lo
	global_load_dwordx2 v[8:9], v[12:13], off
	global_load_dword v14, v[14:15], off offset:4
	global_load_dword v15, v[21:22], off
	v_add_co_u32 v10, vcc_lo, s16, v10
	v_add_co_ci_u32_e64 v11, null, s17, v11, vcc_lo
.LBB34_41:                              ;   Parent Loop BB34_40 Depth=1
                                        ; =>  This Inner Loop Header: Depth=2
	global_load_dword v21, v[10:11], off glc dlc
	s_waitcnt vmcnt(0)
	v_cmp_ne_u32_e32 vcc_lo, 0, v21
	s_or_b32 s0, vcc_lo, s0
	s_andn2_b32 exec_lo, exec_lo, s0
	s_cbranch_execnz .LBB34_41
; %bb.42:                               ;   in Loop: Header=BB34_40 Depth=1
	s_or_b32 exec_lo, exec_lo, s0
	v_subrev_nc_u32_e32 v21, s2, v14
	v_cmp_eq_u32_e32 vcc_lo, -1, v15
	buffer_gl1_inv
	buffer_gl0_inv
	s_mov_b32 s18, -1
	v_add_nc_u32_e32 v10, -1, v21
	v_cndmask_b32_e32 v10, v15, v10, vcc_lo
	v_ashrrev_i32_e32 v11, 31, v10
	v_lshlrev_b64 v[14:15], 3, v[10:11]
	v_add_co_u32 v14, vcc_lo, s12, v14
	v_add_co_ci_u32_e64 v15, null, s13, v15, vcc_lo
	global_load_dwordx2 v[14:15], v[14:15], off
	s_waitcnt vmcnt(0)
	v_cmp_neq_f32_e32 vcc_lo, 0, v14
	v_cmp_neq_f32_e64 s0, 0, v15
	s_or_b32 s19, vcc_lo, s0
	s_and_saveexec_b32 s0, s19
	s_cbranch_execz .LBB34_39
; %bb.43:                               ;   in Loop: Header=BB34_40 Depth=1
	v_mul_f32_e32 v11, v15, v15
	s_mov_b32 s18, exec_lo
	v_fmac_f32_e32 v11, v14, v14
	v_div_scale_f32 v22, null, v11, v11, 1.0
	v_div_scale_f32 v25, vcc_lo, 1.0, v11, 1.0
	v_rcp_f32_e32 v23, v22
	v_fma_f32 v24, -v22, v23, 1.0
	v_fmac_f32_e32 v23, v24, v23
	v_mul_f32_e32 v24, v25, v23
	v_fma_f32 v26, -v22, v24, v25
	v_fmac_f32_e32 v24, v26, v23
	v_fma_f32 v22, -v22, v24, v25
	v_mul_f32_e32 v25, v9, v15
	v_mul_f32_e64 v15, v15, -v8
	v_div_fmas_f32 v22, v22, v23, v24
	v_fmac_f32_e32 v25, v8, v14
	v_fmac_f32_e32 v15, v9, v14
	v_add_nc_u32_e32 v8, v20, v10
	v_div_fixup_f32 v11, v22, v11, 1.0
	v_mul_f32_e32 v10, v25, v11
	v_mul_f32_e32 v11, v15, v11
	global_store_dwordx2 v[12:13], v[10:11], off
	v_cmpx_lt_i32_e64 v8, v21
	s_cbranch_execz .LBB34_38
; %bb.44:                               ;   in Loop: Header=BB34_40 Depth=1
	s_mov_b32 s19, 0
	s_branch .LBB34_46
.LBB34_45:                              ;   in Loop: Header=BB34_46 Depth=2
	s_or_b32 exec_lo, exec_lo, s26
	v_add_nc_u32_e32 v8, 64, v8
	v_cmp_ge_i32_e32 vcc_lo, v8, v21
	s_or_b32 s19, vcc_lo, s19
	s_andn2_b32 exec_lo, exec_lo, s19
	s_cbranch_execz .LBB34_38
.LBB34_46:                              ;   Parent Loop BB34_40 Depth=1
                                        ; =>  This Loop Header: Depth=2
                                        ;       Child Loop BB34_55 Depth 3
	v_ashrrev_i32_e32 v9, 31, v8
	s_mov_b32 s26, 0
                                        ; implicit-def: $sgpr27
                                        ; implicit-def: $sgpr28
                                        ; implicit-def: $sgpr29
	v_lshlrev_b64 v[12:13], 2, v[8:9]
	v_add_co_u32 v12, vcc_lo, s10, v12
	v_add_co_ci_u32_e64 v13, null, s11, v13, vcc_lo
	global_load_dword v12, v[12:13], off
	v_mov_b32_e32 v13, 0x80
	s_waitcnt vmcnt(0)
	v_mul_lo_u32 v15, 0x67, v12
	s_branch .LBB34_55
.LBB34_47:                              ;   in Loop: Header=BB34_55 Depth=3
	s_or_b32 exec_lo, exec_lo, s40
	s_orn2_b32 s38, s38, exec_lo
	s_orn2_b32 s39, s39, exec_lo
.LBB34_48:                              ;   in Loop: Header=BB34_55 Depth=3
	s_or_b32 exec_lo, exec_lo, s37
	s_and_b32 s38, s38, exec_lo
	s_orn2_b32 s37, s39, exec_lo
.LBB34_49:                              ;   in Loop: Header=BB34_55 Depth=3
	s_or_b32 exec_lo, exec_lo, s36
	s_orn2_b32 s36, s38, exec_lo
	s_orn2_b32 s37, s37, exec_lo
.LBB34_50:                              ;   in Loop: Header=BB34_55 Depth=3
	s_or_b32 exec_lo, exec_lo, s35
	s_and_b32 s36, s36, exec_lo
	s_orn2_b32 s35, s37, exec_lo
.LBB34_51:                              ;   in Loop: Header=BB34_55 Depth=3
	s_or_b32 exec_lo, exec_lo, s34
	s_orn2_b32 s34, s36, exec_lo
	s_orn2_b32 s35, s35, exec_lo
.LBB34_52:                              ;   in Loop: Header=BB34_55 Depth=3
	s_or_b32 exec_lo, exec_lo, s33
	s_and_b32 s34, s34, exec_lo
	s_orn2_b32 s33, s35, exec_lo
.LBB34_53:                              ;   in Loop: Header=BB34_55 Depth=3
	s_or_b32 exec_lo, exec_lo, s31
	s_andn2_b32 s29, s29, exec_lo
	s_and_b32 s31, s34, exec_lo
	s_andn2_b32 s28, s28, exec_lo
	s_and_b32 s33, s33, exec_lo
	s_or_b32 s29, s29, s31
	s_or_b32 s28, s28, s33
.LBB34_54:                              ;   in Loop: Header=BB34_55 Depth=3
	s_or_b32 exec_lo, exec_lo, s30
	s_and_b32 s30, exec_lo, s28
	s_or_b32 s26, s30, s26
	s_andn2_b32 s27, s27, exec_lo
	s_and_b32 s30, s29, exec_lo
	s_or_b32 s27, s27, s30
	s_andn2_b32 exec_lo, exec_lo, s26
	s_cbranch_execz .LBB34_64
.LBB34_55:                              ;   Parent Loop BB34_40 Depth=1
                                        ;     Parent Loop BB34_46 Depth=2
                                        ; =>    This Inner Loop Header: Depth=3
	v_and_b32_e32 v14, 0x7f, v15
	s_or_b32 s29, s29, exec_lo
	s_or_b32 s28, s28, exec_lo
	s_mov_b32 s30, exec_lo
	v_lshl_add_u32 v22, v14, 2, v19
	ds_read_b32 v22, v22
	s_waitcnt lgkmcnt(0)
	v_cmpx_ne_u32_e32 -1, v22
	s_cbranch_execz .LBB34_54
; %bb.56:                               ;   in Loop: Header=BB34_55 Depth=3
	s_mov_b32 s33, -1
	s_mov_b32 s34, 0
	s_mov_b32 s31, exec_lo
	v_cmpx_ne_u32_e64 v22, v12
	s_cbranch_execz .LBB34_53
; %bb.57:                               ;   in Loop: Header=BB34_55 Depth=3
	v_add_nc_u32_e32 v14, 1, v15
	s_mov_b32 s35, -1
	s_mov_b32 s34, -1
	s_mov_b32 s33, exec_lo
	v_and_b32_e32 v14, 0x7f, v14
	v_lshl_add_u32 v22, v14, 2, v19
	ds_read_b32 v22, v22
	s_waitcnt lgkmcnt(0)
	v_cmpx_ne_u32_e32 -1, v22
	s_cbranch_execz .LBB34_52
; %bb.58:                               ;   in Loop: Header=BB34_55 Depth=3
	s_mov_b32 s36, 0
	s_mov_b32 s34, exec_lo
	v_cmpx_ne_u32_e64 v22, v12
	s_cbranch_execz .LBB34_51
; %bb.59:                               ;   in Loop: Header=BB34_55 Depth=3
	v_add_nc_u32_e32 v14, 2, v15
	s_mov_b32 s37, -1
	s_mov_b32 s36, -1
	s_mov_b32 s35, exec_lo
	v_and_b32_e32 v14, 0x7f, v14
	v_lshl_add_u32 v22, v14, 2, v19
	ds_read_b32 v22, v22
	s_waitcnt lgkmcnt(0)
	v_cmpx_ne_u32_e32 -1, v22
	s_cbranch_execz .LBB34_50
; %bb.60:                               ;   in Loop: Header=BB34_55 Depth=3
	s_mov_b32 s38, 0
	s_mov_b32 s36, exec_lo
	v_cmpx_ne_u32_e64 v22, v12
	s_cbranch_execz .LBB34_49
; %bb.61:                               ;   in Loop: Header=BB34_55 Depth=3
	v_add_nc_u32_e32 v14, 3, v15
	s_mov_b32 s39, -1
	s_mov_b32 s38, -1
	s_mov_b32 s37, exec_lo
	v_and_b32_e32 v14, 0x7f, v14
	v_lshl_add_u32 v15, v14, 2, v19
	ds_read_b32 v22, v15
                                        ; implicit-def: $vgpr15
	s_waitcnt lgkmcnt(0)
	v_cmpx_ne_u32_e32 -1, v22
	s_cbranch_execz .LBB34_48
; %bb.62:                               ;   in Loop: Header=BB34_55 Depth=3
	s_mov_b32 s38, 0
	s_mov_b32 s40, exec_lo
                                        ; implicit-def: $vgpr15
	v_cmpx_ne_u32_e64 v22, v12
	s_cbranch_execz .LBB34_47
; %bb.63:                               ;   in Loop: Header=BB34_55 Depth=3
	v_add_nc_u32_e32 v13, -4, v13
	v_add_nc_u32_e32 v15, 1, v14
	s_mov_b32 s38, exec_lo
	v_cmp_eq_u32_e32 vcc_lo, 0, v13
	s_orn2_b32 s39, vcc_lo, exec_lo
	s_branch .LBB34_47
.LBB34_64:                              ;   in Loop: Header=BB34_46 Depth=2
	s_or_b32 exec_lo, exec_lo, s26
	s_xor_b32 s26, s27, -1
	s_and_saveexec_b32 s27, s26
	s_xor_b32 s26, exec_lo, s27
	s_cbranch_execz .LBB34_45
; %bb.65:                               ;   in Loop: Header=BB34_46 Depth=2
	v_lshl_add_u32 v12, v14, 2, v0
	v_lshlrev_b64 v[14:15], 3, v[8:9]
	ds_read_b32 v12, v12
	v_add_co_u32 v14, vcc_lo, s12, v14
	v_add_co_ci_u32_e64 v15, null, s13, v15, vcc_lo
	s_waitcnt lgkmcnt(0)
	v_ashrrev_i32_e32 v13, 31, v12
	v_lshlrev_b64 v[12:13], 3, v[12:13]
	v_add_co_u32 v12, vcc_lo, s12, v12
	v_add_co_ci_u32_e64 v13, null, s13, v13, vcc_lo
	s_clause 0x1
	global_load_dwordx2 v[14:15], v[14:15], off
	global_load_dwordx2 v[22:23], v[12:13], off
	s_waitcnt vmcnt(0)
	v_fma_f32 v22, -v10, v14, v22
	v_fma_f32 v9, -v11, v14, v23
	v_fmac_f32_e32 v22, v11, v15
	v_fma_f32 v23, -v10, v15, v9
	global_store_dwordx2 v[12:13], v[22:23], off
	s_branch .LBB34_45
.LBB34_66:
	s_or_b32 exec_lo, exec_lo, s6
	s_mov_b32 s6, exec_lo
	s_waitcnt_vscnt null, 0x0
	buffer_gl0_inv
	v_cmpx_lt_i32_e32 -1, v6
	s_cbranch_execz .LBB34_88
; %bb.67:
	v_mov_b32_e32 v7, 0
	s_mov_b32 s0, exec_lo
	v_lshlrev_b64 v[8:9], 3, v[6:7]
	v_add_co_u32 v10, vcc_lo, s12, v8
	v_add_co_ci_u32_e64 v11, null, s13, v9, vcc_lo
	global_load_dwordx2 v[8:9], v[10:11], off
	s_waitcnt vmcnt(0)
	v_cmp_gt_f32_e32 vcc_lo, 0, v8
	v_cndmask_b32_e64 v0, v8, -v8, vcc_lo
	v_cmp_gt_f32_e32 vcc_lo, 0, v9
	v_cndmask_b32_e64 v6, v9, -v9, vcc_lo
	v_cmpx_ngt_f32_e32 v0, v6
	s_xor_b32 s7, exec_lo, s0
	s_cbranch_execz .LBB34_71
; %bb.68:
	s_mov_b32 s8, exec_lo
	v_cmpx_neq_f32_e32 0, v9
	s_cbranch_execz .LBB34_70
; %bb.69:
	v_div_scale_f32 v7, null, v6, v6, v0
	v_div_scale_f32 v14, vcc_lo, v0, v6, v0
	v_rcp_f32_e32 v12, v7
	v_fma_f32 v13, -v7, v12, 1.0
	v_fmac_f32_e32 v12, v13, v12
	v_mul_f32_e32 v13, v14, v12
	v_fma_f32 v15, -v7, v13, v14
	v_fmac_f32_e32 v13, v15, v12
	v_fma_f32 v7, -v7, v13, v14
	v_div_fmas_f32 v7, v7, v12, v13
	v_div_fixup_f32 v0, v7, v6, v0
	v_fma_f32 v0, v0, v0, 1.0
	v_mul_f32_e32 v7, 0x4f800000, v0
	v_cmp_gt_f32_e32 vcc_lo, 0xf800000, v0
	v_cndmask_b32_e32 v0, v0, v7, vcc_lo
	v_sqrt_f32_e32 v7, v0
	v_add_nc_u32_e32 v12, -1, v7
	v_add_nc_u32_e32 v13, 1, v7
	v_fma_f32 v14, -v12, v7, v0
	v_fma_f32 v15, -v13, v7, v0
	v_cmp_ge_f32_e64 s0, 0, v14
	v_cndmask_b32_e64 v7, v7, v12, s0
	v_cmp_lt_f32_e64 s0, 0, v15
	v_cndmask_b32_e64 v7, v7, v13, s0
	v_mul_f32_e32 v12, 0x37800000, v7
	v_cndmask_b32_e32 v7, v7, v12, vcc_lo
	v_cmp_class_f32_e64 vcc_lo, v0, 0x260
	v_cndmask_b32_e32 v0, v7, v0, vcc_lo
	v_mul_f32_e32 v7, v6, v0
.LBB34_70:
	s_or_b32 exec_lo, exec_lo, s8
                                        ; implicit-def: $vgpr0
                                        ; implicit-def: $vgpr6
.LBB34_71:
	s_andn2_saveexec_b32 s7, s7
	s_cbranch_execz .LBB34_73
; %bb.72:
	v_div_scale_f32 v7, null, v0, v0, v6
	v_div_scale_f32 v14, vcc_lo, v6, v0, v6
	v_rcp_f32_e32 v12, v7
	v_fma_f32 v13, -v7, v12, 1.0
	v_fmac_f32_e32 v12, v13, v12
	v_mul_f32_e32 v13, v14, v12
	v_fma_f32 v15, -v7, v13, v14
	v_fmac_f32_e32 v13, v15, v12
	v_fma_f32 v7, -v7, v13, v14
	v_div_fmas_f32 v7, v7, v12, v13
	v_div_fixup_f32 v6, v7, v0, v6
	v_fma_f32 v6, v6, v6, 1.0
	v_mul_f32_e32 v7, 0x4f800000, v6
	v_cmp_gt_f32_e32 vcc_lo, 0xf800000, v6
	v_cndmask_b32_e32 v6, v6, v7, vcc_lo
	v_sqrt_f32_e32 v7, v6
	v_add_nc_u32_e32 v12, -1, v7
	v_add_nc_u32_e32 v13, 1, v7
	v_fma_f32 v14, -v12, v7, v6
	v_fma_f32 v15, -v13, v7, v6
	v_cmp_ge_f32_e64 s0, 0, v14
	v_cndmask_b32_e64 v7, v7, v12, s0
	v_cmp_lt_f32_e64 s0, 0, v15
	v_cndmask_b32_e64 v7, v7, v13, s0
	v_mul_f32_e32 v12, 0x37800000, v7
	v_cndmask_b32_e32 v7, v7, v12, vcc_lo
	v_cmp_class_f32_e64 vcc_lo, v6, 0x260
	v_cndmask_b32_e32 v6, v7, v6, vcc_lo
	v_mul_f32_e32 v7, v0, v6
.LBB34_73:
	s_or_b32 exec_lo, exec_lo, s7
	v_cvt_f64_f32_e32 v[6:7], v7
	v_cmp_ne_u32_e32 vcc_lo, 1, v18
	v_cmp_eq_u32_e64 s0, 0, v16
	s_mov_b32 s7, -1
	s_cbranch_vccnz .LBB34_77
; %bb.74:
	v_cvt_f64_f32_e32 v[12:13], v17
	s_cmp_eq_u64 s[24:25], 8
	s_cselect_b32 vcc_lo, -1, 0
	v_cndmask_b32_e32 v4, v13, v4, vcc_lo
	v_cndmask_b32_e32 v3, v12, v3, vcc_lo
	v_cmp_ge_f64_e32 vcc_lo, v[3:4], v[6:7]
	s_and_b32 s8, s0, vcc_lo
	s_and_saveexec_b32 s7, s8
	s_cbranch_execz .LBB34_76
; %bb.75:
	v_mov_b32_e32 v3, s1
	v_mov_b32_e32 v4, s3
	global_store_dwordx2 v[10:11], v[3:4], off
	s_waitcnt_vscnt null, 0x0
	buffer_gl1_inv
	buffer_gl0_inv
.LBB34_76:
	s_or_b32 exec_lo, exec_lo, s7
	s_mov_b32 s7, 0
.LBB34_77:
	s_andn2_b32 vcc_lo, exec_lo, s7
	s_cbranch_vccnz .LBB34_88
; %bb.78:
	s_load_dwordx2 s[4:5], s[4:5], 0x48
	v_add_nc_u32_e32 v0, s2, v5
	s_waitcnt lgkmcnt(0)
	v_cmp_ge_f64_e32 vcc_lo, s[4:5], v[6:7]
	s_and_b32 s2, s0, vcc_lo
	s_and_saveexec_b32 s1, s2
	s_cbranch_execz .LBB34_83
; %bb.79:
	s_mov_b32 s3, exec_lo
	s_brev_b32 s2, -2
.LBB34_80:                              ; =>This Inner Loop Header: Depth=1
	s_ff1_i32_b32 s4, s3
	v_readlane_b32 s5, v0, s4
	s_lshl_b32 s4, 1, s4
	s_andn2_b32 s3, s3, s4
	s_min_i32 s2, s2, s5
	s_cmp_lg_u32 s3, 0
	s_cbranch_scc1 .LBB34_80
; %bb.81:
	v_mbcnt_lo_u32_b32 v3, exec_lo, 0
	s_mov_b32 s3, exec_lo
	v_cmpx_eq_u32_e32 0, v3
	s_xor_b32 s3, exec_lo, s3
	s_cbranch_execz .LBB34_83
; %bb.82:
	v_mov_b32_e32 v3, 0
	v_mov_b32_e32 v4, s2
	global_atomic_smin v3, v4, s[22:23]
.LBB34_83:
	s_or_b32 exec_lo, exec_lo, s1
	v_cmp_eq_f32_e32 vcc_lo, 0, v8
	v_cmp_eq_f32_e64 s1, 0, v9
	s_and_b32 s1, vcc_lo, s1
	s_and_b32 s0, s0, s1
	s_and_b32 exec_lo, exec_lo, s0
	s_cbranch_execz .LBB34_88
; %bb.84:
	s_mov_b32 s1, exec_lo
	s_brev_b32 s0, -2
.LBB34_85:                              ; =>This Inner Loop Header: Depth=1
	s_ff1_i32_b32 s2, s1
	v_readlane_b32 s3, v0, s2
	s_lshl_b32 s2, 1, s2
	s_andn2_b32 s1, s1, s2
	s_min_i32 s0, s0, s3
	s_cmp_lg_u32 s1, 0
	s_cbranch_scc1 .LBB34_85
; %bb.86:
	v_mbcnt_lo_u32_b32 v0, exec_lo, 0
	s_mov_b32 s1, exec_lo
	v_cmpx_eq_u32_e32 0, v0
	s_xor_b32 s1, exec_lo, s1
	s_cbranch_execz .LBB34_88
; %bb.87:
	v_mov_b32_e32 v0, 0
	v_mov_b32_e32 v3, s0
	global_atomic_smin v0, v3, s[20:21]
.LBB34_88:
	s_or_b32 exec_lo, exec_lo, s6
	v_cmp_eq_u32_e32 vcc_lo, 0, v16
	s_waitcnt_vscnt null, 0x0
	buffer_gl1_inv
	buffer_gl0_inv
	s_and_b32 exec_lo, exec_lo, vcc_lo
	s_cbranch_execz .LBB34_90
; %bb.89:
	v_add_co_u32 v0, vcc_lo, s16, v1
	v_add_co_ci_u32_e64 v1, null, s17, v2, vcc_lo
	v_mov_b32_e32 v2, 1
	global_store_dword v[0:1], v2, off
.LBB34_90:
	s_endpgm
	.section	.rodata,"a",@progbits
	.p2align	6, 0x0
	.amdhsa_kernel _ZN9rocsparseL12csrilu0_hashILj256ELj64ELj2E21rocsparse_complex_numIfEEEviPKiS4_PT2_S4_PiS4_S7_S7_d21rocsparse_index_base_imNS_24const_host_device_scalarIfEENS9_IdEENS9_IS5_EEb
		.amdhsa_group_segment_fixed_size 4096
		.amdhsa_private_segment_fixed_size 0
		.amdhsa_kernarg_size 124
		.amdhsa_user_sgpr_count 6
		.amdhsa_user_sgpr_private_segment_buffer 1
		.amdhsa_user_sgpr_dispatch_ptr 0
		.amdhsa_user_sgpr_queue_ptr 0
		.amdhsa_user_sgpr_kernarg_segment_ptr 1
		.amdhsa_user_sgpr_dispatch_id 0
		.amdhsa_user_sgpr_flat_scratch_init 0
		.amdhsa_user_sgpr_private_segment_size 0
		.amdhsa_wavefront_size32 1
		.amdhsa_uses_dynamic_stack 0
		.amdhsa_system_sgpr_private_segment_wavefront_offset 0
		.amdhsa_system_sgpr_workgroup_id_x 1
		.amdhsa_system_sgpr_workgroup_id_y 0
		.amdhsa_system_sgpr_workgroup_id_z 0
		.amdhsa_system_sgpr_workgroup_info 0
		.amdhsa_system_vgpr_workitem_id 0
		.amdhsa_next_free_vgpr 27
		.amdhsa_next_free_sgpr 41
		.amdhsa_reserve_vcc 1
		.amdhsa_reserve_flat_scratch 0
		.amdhsa_float_round_mode_32 0
		.amdhsa_float_round_mode_16_64 0
		.amdhsa_float_denorm_mode_32 3
		.amdhsa_float_denorm_mode_16_64 3
		.amdhsa_dx10_clamp 1
		.amdhsa_ieee_mode 1
		.amdhsa_fp16_overflow 0
		.amdhsa_workgroup_processor_mode 1
		.amdhsa_memory_ordered 1
		.amdhsa_forward_progress 1
		.amdhsa_shared_vgpr_count 0
		.amdhsa_exception_fp_ieee_invalid_op 0
		.amdhsa_exception_fp_denorm_src 0
		.amdhsa_exception_fp_ieee_div_zero 0
		.amdhsa_exception_fp_ieee_overflow 0
		.amdhsa_exception_fp_ieee_underflow 0
		.amdhsa_exception_fp_ieee_inexact 0
		.amdhsa_exception_int_div_zero 0
	.end_amdhsa_kernel
	.section	.text._ZN9rocsparseL12csrilu0_hashILj256ELj64ELj2E21rocsparse_complex_numIfEEEviPKiS4_PT2_S4_PiS4_S7_S7_d21rocsparse_index_base_imNS_24const_host_device_scalarIfEENS9_IdEENS9_IS5_EEb,"axG",@progbits,_ZN9rocsparseL12csrilu0_hashILj256ELj64ELj2E21rocsparse_complex_numIfEEEviPKiS4_PT2_S4_PiS4_S7_S7_d21rocsparse_index_base_imNS_24const_host_device_scalarIfEENS9_IdEENS9_IS5_EEb,comdat
.Lfunc_end34:
	.size	_ZN9rocsparseL12csrilu0_hashILj256ELj64ELj2E21rocsparse_complex_numIfEEEviPKiS4_PT2_S4_PiS4_S7_S7_d21rocsparse_index_base_imNS_24const_host_device_scalarIfEENS9_IdEENS9_IS5_EEb, .Lfunc_end34-_ZN9rocsparseL12csrilu0_hashILj256ELj64ELj2E21rocsparse_complex_numIfEEEviPKiS4_PT2_S4_PiS4_S7_S7_d21rocsparse_index_base_imNS_24const_host_device_scalarIfEENS9_IdEENS9_IS5_EEb
                                        ; -- End function
	.set _ZN9rocsparseL12csrilu0_hashILj256ELj64ELj2E21rocsparse_complex_numIfEEEviPKiS4_PT2_S4_PiS4_S7_S7_d21rocsparse_index_base_imNS_24const_host_device_scalarIfEENS9_IdEENS9_IS5_EEb.num_vgpr, 27
	.set _ZN9rocsparseL12csrilu0_hashILj256ELj64ELj2E21rocsparse_complex_numIfEEEviPKiS4_PT2_S4_PiS4_S7_S7_d21rocsparse_index_base_imNS_24const_host_device_scalarIfEENS9_IdEENS9_IS5_EEb.num_agpr, 0
	.set _ZN9rocsparseL12csrilu0_hashILj256ELj64ELj2E21rocsparse_complex_numIfEEEviPKiS4_PT2_S4_PiS4_S7_S7_d21rocsparse_index_base_imNS_24const_host_device_scalarIfEENS9_IdEENS9_IS5_EEb.numbered_sgpr, 41
	.set _ZN9rocsparseL12csrilu0_hashILj256ELj64ELj2E21rocsparse_complex_numIfEEEviPKiS4_PT2_S4_PiS4_S7_S7_d21rocsparse_index_base_imNS_24const_host_device_scalarIfEENS9_IdEENS9_IS5_EEb.num_named_barrier, 0
	.set _ZN9rocsparseL12csrilu0_hashILj256ELj64ELj2E21rocsparse_complex_numIfEEEviPKiS4_PT2_S4_PiS4_S7_S7_d21rocsparse_index_base_imNS_24const_host_device_scalarIfEENS9_IdEENS9_IS5_EEb.private_seg_size, 0
	.set _ZN9rocsparseL12csrilu0_hashILj256ELj64ELj2E21rocsparse_complex_numIfEEEviPKiS4_PT2_S4_PiS4_S7_S7_d21rocsparse_index_base_imNS_24const_host_device_scalarIfEENS9_IdEENS9_IS5_EEb.uses_vcc, 1
	.set _ZN9rocsparseL12csrilu0_hashILj256ELj64ELj2E21rocsparse_complex_numIfEEEviPKiS4_PT2_S4_PiS4_S7_S7_d21rocsparse_index_base_imNS_24const_host_device_scalarIfEENS9_IdEENS9_IS5_EEb.uses_flat_scratch, 0
	.set _ZN9rocsparseL12csrilu0_hashILj256ELj64ELj2E21rocsparse_complex_numIfEEEviPKiS4_PT2_S4_PiS4_S7_S7_d21rocsparse_index_base_imNS_24const_host_device_scalarIfEENS9_IdEENS9_IS5_EEb.has_dyn_sized_stack, 0
	.set _ZN9rocsparseL12csrilu0_hashILj256ELj64ELj2E21rocsparse_complex_numIfEEEviPKiS4_PT2_S4_PiS4_S7_S7_d21rocsparse_index_base_imNS_24const_host_device_scalarIfEENS9_IdEENS9_IS5_EEb.has_recursion, 0
	.set _ZN9rocsparseL12csrilu0_hashILj256ELj64ELj2E21rocsparse_complex_numIfEEEviPKiS4_PT2_S4_PiS4_S7_S7_d21rocsparse_index_base_imNS_24const_host_device_scalarIfEENS9_IdEENS9_IS5_EEb.has_indirect_call, 0
	.section	.AMDGPU.csdata,"",@progbits
; Kernel info:
; codeLenInByte = 3284
; TotalNumSgprs: 43
; NumVgprs: 27
; ScratchSize: 0
; MemoryBound: 0
; FloatMode: 240
; IeeeMode: 1
; LDSByteSize: 4096 bytes/workgroup (compile time only)
; SGPRBlocks: 0
; VGPRBlocks: 3
; NumSGPRsForWavesPerEU: 43
; NumVGPRsForWavesPerEU: 27
; Occupancy: 16
; WaveLimiterHint : 1
; COMPUTE_PGM_RSRC2:SCRATCH_EN: 0
; COMPUTE_PGM_RSRC2:USER_SGPR: 6
; COMPUTE_PGM_RSRC2:TRAP_HANDLER: 0
; COMPUTE_PGM_RSRC2:TGID_X_EN: 1
; COMPUTE_PGM_RSRC2:TGID_Y_EN: 0
; COMPUTE_PGM_RSRC2:TGID_Z_EN: 0
; COMPUTE_PGM_RSRC2:TIDIG_COMP_CNT: 0
	.section	.text._ZN9rocsparseL12csrilu0_hashILj256ELj64ELj4E21rocsparse_complex_numIfEEEviPKiS4_PT2_S4_PiS4_S7_S7_d21rocsparse_index_base_imNS_24const_host_device_scalarIfEENS9_IdEENS9_IS5_EEb,"axG",@progbits,_ZN9rocsparseL12csrilu0_hashILj256ELj64ELj4E21rocsparse_complex_numIfEEEviPKiS4_PT2_S4_PiS4_S7_S7_d21rocsparse_index_base_imNS_24const_host_device_scalarIfEENS9_IdEENS9_IS5_EEb,comdat
	.globl	_ZN9rocsparseL12csrilu0_hashILj256ELj64ELj4E21rocsparse_complex_numIfEEEviPKiS4_PT2_S4_PiS4_S7_S7_d21rocsparse_index_base_imNS_24const_host_device_scalarIfEENS9_IdEENS9_IS5_EEb ; -- Begin function _ZN9rocsparseL12csrilu0_hashILj256ELj64ELj4E21rocsparse_complex_numIfEEEviPKiS4_PT2_S4_PiS4_S7_S7_d21rocsparse_index_base_imNS_24const_host_device_scalarIfEENS9_IdEENS9_IS5_EEb
	.p2align	8
	.type	_ZN9rocsparseL12csrilu0_hashILj256ELj64ELj4E21rocsparse_complex_numIfEEEviPKiS4_PT2_S4_PiS4_S7_S7_d21rocsparse_index_base_imNS_24const_host_device_scalarIfEENS9_IdEENS9_IS5_EEb,@function
_ZN9rocsparseL12csrilu0_hashILj256ELj64ELj4E21rocsparse_complex_numIfEEEviPKiS4_PT2_S4_PiS4_S7_S7_d21rocsparse_index_base_imNS_24const_host_device_scalarIfEENS9_IdEENS9_IS5_EEb: ; @_ZN9rocsparseL12csrilu0_hashILj256ELj64ELj4E21rocsparse_complex_numIfEEEviPKiS4_PT2_S4_PiS4_S7_S7_d21rocsparse_index_base_imNS_24const_host_device_scalarIfEENS9_IdEENS9_IS5_EEb
; %bb.0:
	s_clause 0x2
	s_load_dword s0, s[4:5], 0x78
	s_load_dwordx2 s[2:3], s[4:5], 0x50
	s_load_dwordx8 s[24:31], s[4:5], 0x58
	s_waitcnt lgkmcnt(0)
	s_bitcmp1_b32 s0, 0
	s_cselect_b32 s7, -1, 0
	s_cmp_eq_u32 s3, 0
	s_cselect_b32 s9, -1, 0
	s_cmp_lg_u32 s3, 0
	s_cselect_b32 s3, -1, 0
	s_or_b32 s10, s9, s7
	s_xor_b32 s8, s10, -1
	s_and_b32 s0, s9, exec_lo
	s_cselect_b32 s1, 0, s29
	s_cselect_b32 s0, 0, s28
	s_and_b32 vcc_lo, exec_lo, s10
	s_cbranch_vccnz .LBB35_2
; %bb.1:
	s_load_dword s0, s[26:27], 0x0
	s_waitcnt lgkmcnt(0)
	v_mov_b32_e32 v17, s0
	s_mov_b64 s[0:1], s[28:29]
	v_mov_b32_e32 v4, s1
	v_mov_b32_e32 v3, s0
	s_andn2_b32 vcc_lo, exec_lo, s8
	s_cbranch_vccz .LBB35_3
	s_branch .LBB35_4
.LBB35_2:
	v_cndmask_b32_e64 v17, s26, 0, s9
	v_mov_b32_e32 v4, s1
	v_mov_b32_e32 v3, s0
	s_andn2_b32 vcc_lo, exec_lo, s8
	s_cbranch_vccnz .LBB35_4
.LBB35_3:
	v_mov_b32_e32 v1, s28
	v_mov_b32_e32 v2, s29
	flat_load_dwordx2 v[3:4], v[1:2]
.LBB35_4:
	v_cndmask_b32_e64 v18, 0, 1, s3
	s_mov_b32 s1, 0
	s_andn2_b32 vcc_lo, exec_lo, s3
	s_mov_b32 s3, 0
	s_cbranch_vccnz .LBB35_10
; %bb.5:
	s_xor_b32 s0, s7, -1
	s_mov_b32 s1, s30
	v_cndmask_b32_e64 v1, 0, 1, s0
	s_andn2_b32 vcc_lo, exec_lo, s0
	s_cbranch_vccnz .LBB35_7
; %bb.6:
	s_load_dword s1, s[30:31], 0x0
.LBB35_7:
	v_cmp_ne_u32_e32 vcc_lo, 1, v1
	s_cbranch_vccnz .LBB35_9
; %bb.8:
	s_load_dword s31, s[30:31], 0x4
.LBB35_9:
	s_waitcnt lgkmcnt(0)
	s_mov_b32 s3, s31
.LBB35_10:
	v_lshrrev_b32_e32 v1, 6, v0
	v_and_b32_e32 v16, 63, v0
	s_mov_b32 s0, 0
	v_lshlrev_b32_e32 v5, 10, v1
	v_lshlrev_b32_e32 v6, 2, v16
	v_or_b32_e32 v2, 0xffffffc0, v16
	v_or3_b32 v5, v5, v6, 0x1000
	v_mov_b32_e32 v6, -1
.LBB35_11:                              ; =>This Inner Loop Header: Depth=1
	v_add_nc_u32_e32 v2, 64, v2
	ds_write_b32 v5, v6
	v_add_nc_u32_e32 v5, 0x100, v5
	v_cmp_lt_u32_e32 vcc_lo, 0xbf, v2
	s_or_b32 s0, vcc_lo, s0
	s_andn2_b32 exec_lo, exec_lo, s0
	s_cbranch_execnz .LBB35_11
; %bb.12:
	s_or_b32 exec_lo, exec_lo, s0
	s_load_dword s0, s[4:5], 0x0
	s_lshl_b32 s6, s6, 2
	s_waitcnt vmcnt(0) lgkmcnt(0)
	buffer_gl0_inv
	v_and_or_b32 v1, 0x3fffffc, s6, v1
	v_cmp_gt_i32_e32 vcc_lo, s0, v1
	s_and_saveexec_b32 s0, vcc_lo
	s_cbranch_execz .LBB35_90
; %bb.13:
	s_load_dwordx16 s[8:23], s[4:5], 0x8
	v_lshlrev_b32_e32 v1, 2, v1
	v_lshlrev_b32_e32 v0, 4, v0
	s_mov_b32 s0, exec_lo
	v_and_b32_e32 v0, 0xc00, v0
	v_or_b32_e32 v19, 0x1000, v0
	s_waitcnt lgkmcnt(0)
	global_load_dword v5, v1, s[18:19]
	s_waitcnt vmcnt(0)
	v_ashrrev_i32_e32 v6, 31, v5
	v_lshlrev_b64 v[1:2], 2, v[5:6]
	v_add_co_u32 v6, vcc_lo, s8, v1
	v_add_co_ci_u32_e64 v7, null, s9, v2, vcc_lo
	v_add_co_u32 v9, vcc_lo, s14, v1
	v_add_co_ci_u32_e64 v10, null, s15, v2, vcc_lo
	global_load_dwordx2 v[7:8], v[6:7], off
	global_load_dword v6, v[9:10], off
	s_waitcnt vmcnt(1)
	v_subrev_nc_u32_e32 v7, s2, v7
	v_subrev_nc_u32_e32 v10, s2, v8
	v_add_nc_u32_e32 v8, v7, v16
	v_cmpx_lt_i32_e64 v8, v10
	s_cbranch_execz .LBB35_36
; %bb.14:
	v_mov_b32_e32 v11, -1
	s_mov_b32 s6, 0
	s_branch .LBB35_16
.LBB35_15:                              ;   in Loop: Header=BB35_16 Depth=1
	s_or_b32 exec_lo, exec_lo, s7
	v_add_nc_u32_e32 v8, 64, v8
	v_cmp_ge_i32_e32 vcc_lo, v8, v10
	s_or_b32 s6, vcc_lo, s6
	s_andn2_b32 exec_lo, exec_lo, s6
	s_cbranch_execz .LBB35_36
.LBB35_16:                              ; =>This Loop Header: Depth=1
                                        ;     Child Loop BB35_25 Depth 2
	v_ashrrev_i32_e32 v9, 31, v8
	s_mov_b32 s7, 0
                                        ; implicit-def: $sgpr18
                                        ; implicit-def: $sgpr19
                                        ; implicit-def: $sgpr26
	v_lshlrev_b64 v[12:13], 2, v[8:9]
	v_add_co_u32 v12, vcc_lo, s10, v12
	v_add_co_ci_u32_e64 v13, null, s11, v13, vcc_lo
	global_load_dword v9, v[12:13], off
	v_mov_b32_e32 v12, 0x100
	s_waitcnt vmcnt(0)
	v_mul_lo_u32 v14, 0x67, v9
	s_branch .LBB35_25
.LBB35_17:                              ;   in Loop: Header=BB35_25 Depth=2
	s_or_b32 exec_lo, exec_lo, s37
	s_orn2_b32 s35, s35, exec_lo
	s_orn2_b32 s36, s36, exec_lo
.LBB35_18:                              ;   in Loop: Header=BB35_25 Depth=2
	s_or_b32 exec_lo, exec_lo, s34
	s_and_b32 s35, s35, exec_lo
	s_orn2_b32 s34, s36, exec_lo
.LBB35_19:                              ;   in Loop: Header=BB35_25 Depth=2
	s_or_b32 exec_lo, exec_lo, s33
	s_orn2_b32 s33, s35, exec_lo
	s_orn2_b32 s34, s34, exec_lo
.LBB35_20:                              ;   in Loop: Header=BB35_25 Depth=2
	s_or_b32 exec_lo, exec_lo, s31
	s_and_b32 s33, s33, exec_lo
	s_orn2_b32 s31, s34, exec_lo
.LBB35_21:                              ;   in Loop: Header=BB35_25 Depth=2
	s_or_b32 exec_lo, exec_lo, s30
	s_orn2_b32 s30, s33, exec_lo
	s_orn2_b32 s31, s31, exec_lo
.LBB35_22:                              ;   in Loop: Header=BB35_25 Depth=2
	s_or_b32 exec_lo, exec_lo, s29
	s_and_b32 s30, s30, exec_lo
	s_orn2_b32 s29, s31, exec_lo
.LBB35_23:                              ;   in Loop: Header=BB35_25 Depth=2
	s_or_b32 exec_lo, exec_lo, s28
	s_andn2_b32 s26, s26, exec_lo
	s_and_b32 s28, s30, exec_lo
	s_andn2_b32 s19, s19, exec_lo
	s_and_b32 s29, s29, exec_lo
	s_or_b32 s26, s26, s28
	s_or_b32 s19, s19, s29
.LBB35_24:                              ;   in Loop: Header=BB35_25 Depth=2
	s_or_b32 exec_lo, exec_lo, s27
	s_and_b32 s27, exec_lo, s19
	s_or_b32 s7, s27, s7
	s_andn2_b32 s18, s18, exec_lo
	s_and_b32 s27, s26, exec_lo
	s_or_b32 s18, s18, s27
	s_andn2_b32 exec_lo, exec_lo, s7
	s_cbranch_execz .LBB35_34
.LBB35_25:                              ;   Parent Loop BB35_16 Depth=1
                                        ; =>  This Inner Loop Header: Depth=2
	v_and_b32_e32 v13, 0xff, v14
	s_or_b32 s26, s26, exec_lo
	s_or_b32 s19, s19, exec_lo
	s_mov_b32 s27, exec_lo
	v_lshl_add_u32 v15, v13, 2, v19
	ds_read_b32 v20, v15
	s_waitcnt lgkmcnt(0)
	v_cmpx_ne_u32_e64 v20, v9
	s_cbranch_execz .LBB35_24
; %bb.26:                               ;   in Loop: Header=BB35_25 Depth=2
	ds_cmpst_rtn_b32 v15, v15, v11, v9
	s_mov_b32 s29, -1
	s_mov_b32 s30, 0
	s_mov_b32 s28, exec_lo
	s_waitcnt lgkmcnt(0)
	v_cmpx_ne_u32_e32 -1, v15
	s_cbranch_execz .LBB35_23
; %bb.27:                               ;   in Loop: Header=BB35_25 Depth=2
	v_add_nc_u32_e32 v13, 1, v14
	s_mov_b32 s31, -1
	s_mov_b32 s30, -1
	s_mov_b32 s29, exec_lo
	v_and_b32_e32 v13, 0xff, v13
	v_lshl_add_u32 v15, v13, 2, v19
	ds_read_b32 v20, v15
	s_waitcnt lgkmcnt(0)
	v_cmpx_ne_u32_e64 v20, v9
	s_cbranch_execz .LBB35_22
; %bb.28:                               ;   in Loop: Header=BB35_25 Depth=2
	ds_cmpst_rtn_b32 v15, v15, v11, v9
	s_mov_b32 s33, 0
	s_mov_b32 s30, exec_lo
	s_waitcnt lgkmcnt(0)
	v_cmpx_ne_u32_e32 -1, v15
	s_cbranch_execz .LBB35_21
; %bb.29:                               ;   in Loop: Header=BB35_25 Depth=2
	v_add_nc_u32_e32 v13, 2, v14
	s_mov_b32 s34, -1
	s_mov_b32 s33, -1
	s_mov_b32 s31, exec_lo
	v_and_b32_e32 v13, 0xff, v13
	v_lshl_add_u32 v15, v13, 2, v19
	ds_read_b32 v20, v15
	s_waitcnt lgkmcnt(0)
	v_cmpx_ne_u32_e64 v20, v9
	s_cbranch_execz .LBB35_20
; %bb.30:                               ;   in Loop: Header=BB35_25 Depth=2
	ds_cmpst_rtn_b32 v15, v15, v11, v9
	s_mov_b32 s35, 0
	s_mov_b32 s33, exec_lo
	s_waitcnt lgkmcnt(0)
	v_cmpx_ne_u32_e32 -1, v15
	s_cbranch_execz .LBB35_19
; %bb.31:                               ;   in Loop: Header=BB35_25 Depth=2
	v_add_nc_u32_e32 v13, 3, v14
	s_mov_b32 s36, -1
	s_mov_b32 s35, -1
	v_and_b32_e32 v13, 0xff, v13
	v_lshl_add_u32 v15, v13, 2, v19
	ds_read_b32 v14, v15
	s_waitcnt lgkmcnt(0)
	v_cmp_ne_u32_e32 vcc_lo, v14, v9
                                        ; implicit-def: $vgpr14
	s_and_saveexec_b32 s34, vcc_lo
	s_cbranch_execz .LBB35_18
; %bb.32:                               ;   in Loop: Header=BB35_25 Depth=2
	ds_cmpst_rtn_b32 v14, v15, v11, v9
	s_mov_b32 s35, 0
	s_waitcnt lgkmcnt(0)
	v_cmp_ne_u32_e32 vcc_lo, -1, v14
                                        ; implicit-def: $vgpr14
	s_and_saveexec_b32 s37, vcc_lo
	s_cbranch_execz .LBB35_17
; %bb.33:                               ;   in Loop: Header=BB35_25 Depth=2
	v_add_nc_u32_e32 v12, -4, v12
	v_add_nc_u32_e32 v14, 1, v13
	s_mov_b32 s35, exec_lo
	v_cmp_eq_u32_e32 vcc_lo, 0, v12
	s_orn2_b32 s36, vcc_lo, exec_lo
	s_branch .LBB35_17
.LBB35_34:                              ;   in Loop: Header=BB35_16 Depth=1
	s_or_b32 exec_lo, exec_lo, s7
	s_xor_b32 s7, s18, -1
	s_and_saveexec_b32 s18, s7
	s_xor_b32 s7, exec_lo, s18
	s_cbranch_execz .LBB35_15
; %bb.35:                               ;   in Loop: Header=BB35_16 Depth=1
	v_lshl_add_u32 v9, v13, 2, v0
	ds_write_b32 v9, v8
	s_branch .LBB35_15
.LBB35_36:
	s_or_b32 exec_lo, exec_lo, s0
	s_mov_b32 s6, exec_lo
	s_waitcnt vmcnt(0) lgkmcnt(0)
	buffer_gl0_inv
	v_cmpx_lt_i32_e64 v7, v6
	s_cbranch_execz .LBB35_66
; %bb.37:
	v_add_nc_u32_e32 v20, 1, v16
	s_mov_b32 s7, 0
	s_branch .LBB35_40
.LBB35_38:                              ;   in Loop: Header=BB35_40 Depth=1
	s_or_b32 exec_lo, exec_lo, s18
	v_add_nc_u32_e32 v7, 1, v7
	v_cmp_ge_i32_e32 vcc_lo, v7, v6
	s_orn2_b32 s18, vcc_lo, exec_lo
.LBB35_39:                              ;   in Loop: Header=BB35_40 Depth=1
	s_or_b32 exec_lo, exec_lo, s0
	s_and_b32 s0, exec_lo, s18
	s_or_b32 s7, s0, s7
	s_andn2_b32 exec_lo, exec_lo, s7
	s_cbranch_execz .LBB35_66
.LBB35_40:                              ; =>This Loop Header: Depth=1
                                        ;     Child Loop BB35_41 Depth 2
                                        ;     Child Loop BB35_46 Depth 2
                                        ;       Child Loop BB35_55 Depth 3
	v_ashrrev_i32_e32 v8, 31, v7
	s_mov_b32 s0, 0
	v_lshlrev_b64 v[9:10], 2, v[7:8]
	v_lshlrev_b64 v[12:13], 3, v[7:8]
	v_add_co_u32 v9, vcc_lo, s10, v9
	v_add_co_ci_u32_e64 v10, null, s11, v10, vcc_lo
	v_add_co_u32 v12, vcc_lo, s12, v12
	v_add_co_ci_u32_e64 v13, null, s13, v13, vcc_lo
	global_load_dword v9, v[9:10], off
	s_waitcnt vmcnt(0)
	v_subrev_nc_u32_e32 v9, s2, v9
	v_ashrrev_i32_e32 v10, 31, v9
	v_lshlrev_b64 v[10:11], 2, v[9:10]
	v_add_co_u32 v14, vcc_lo, s8, v10
	v_add_co_ci_u32_e64 v15, null, s9, v11, vcc_lo
	v_add_co_u32 v21, vcc_lo, s14, v10
	v_add_co_ci_u32_e64 v22, null, s15, v11, vcc_lo
	global_load_dwordx2 v[8:9], v[12:13], off
	global_load_dword v14, v[14:15], off offset:4
	global_load_dword v15, v[21:22], off
	v_add_co_u32 v10, vcc_lo, s16, v10
	v_add_co_ci_u32_e64 v11, null, s17, v11, vcc_lo
.LBB35_41:                              ;   Parent Loop BB35_40 Depth=1
                                        ; =>  This Inner Loop Header: Depth=2
	global_load_dword v21, v[10:11], off glc dlc
	s_waitcnt vmcnt(0)
	v_cmp_ne_u32_e32 vcc_lo, 0, v21
	s_or_b32 s0, vcc_lo, s0
	s_andn2_b32 exec_lo, exec_lo, s0
	s_cbranch_execnz .LBB35_41
; %bb.42:                               ;   in Loop: Header=BB35_40 Depth=1
	s_or_b32 exec_lo, exec_lo, s0
	v_subrev_nc_u32_e32 v21, s2, v14
	v_cmp_eq_u32_e32 vcc_lo, -1, v15
	buffer_gl1_inv
	buffer_gl0_inv
	s_mov_b32 s18, -1
	v_add_nc_u32_e32 v10, -1, v21
	v_cndmask_b32_e32 v10, v15, v10, vcc_lo
	v_ashrrev_i32_e32 v11, 31, v10
	v_lshlrev_b64 v[14:15], 3, v[10:11]
	v_add_co_u32 v14, vcc_lo, s12, v14
	v_add_co_ci_u32_e64 v15, null, s13, v15, vcc_lo
	global_load_dwordx2 v[14:15], v[14:15], off
	s_waitcnt vmcnt(0)
	v_cmp_neq_f32_e32 vcc_lo, 0, v14
	v_cmp_neq_f32_e64 s0, 0, v15
	s_or_b32 s19, vcc_lo, s0
	s_and_saveexec_b32 s0, s19
	s_cbranch_execz .LBB35_39
; %bb.43:                               ;   in Loop: Header=BB35_40 Depth=1
	v_mul_f32_e32 v11, v15, v15
	s_mov_b32 s18, exec_lo
	v_fmac_f32_e32 v11, v14, v14
	v_div_scale_f32 v22, null, v11, v11, 1.0
	v_div_scale_f32 v25, vcc_lo, 1.0, v11, 1.0
	v_rcp_f32_e32 v23, v22
	v_fma_f32 v24, -v22, v23, 1.0
	v_fmac_f32_e32 v23, v24, v23
	v_mul_f32_e32 v24, v25, v23
	v_fma_f32 v26, -v22, v24, v25
	v_fmac_f32_e32 v24, v26, v23
	v_fma_f32 v22, -v22, v24, v25
	v_mul_f32_e32 v25, v9, v15
	v_mul_f32_e64 v15, v15, -v8
	v_div_fmas_f32 v22, v22, v23, v24
	v_fmac_f32_e32 v25, v8, v14
	v_fmac_f32_e32 v15, v9, v14
	v_add_nc_u32_e32 v8, v20, v10
	v_div_fixup_f32 v11, v22, v11, 1.0
	v_mul_f32_e32 v10, v25, v11
	v_mul_f32_e32 v11, v15, v11
	global_store_dwordx2 v[12:13], v[10:11], off
	v_cmpx_lt_i32_e64 v8, v21
	s_cbranch_execz .LBB35_38
; %bb.44:                               ;   in Loop: Header=BB35_40 Depth=1
	s_mov_b32 s19, 0
	s_branch .LBB35_46
.LBB35_45:                              ;   in Loop: Header=BB35_46 Depth=2
	s_or_b32 exec_lo, exec_lo, s26
	v_add_nc_u32_e32 v8, 64, v8
	v_cmp_ge_i32_e32 vcc_lo, v8, v21
	s_or_b32 s19, vcc_lo, s19
	s_andn2_b32 exec_lo, exec_lo, s19
	s_cbranch_execz .LBB35_38
.LBB35_46:                              ;   Parent Loop BB35_40 Depth=1
                                        ; =>  This Loop Header: Depth=2
                                        ;       Child Loop BB35_55 Depth 3
	v_ashrrev_i32_e32 v9, 31, v8
	s_mov_b32 s26, 0
                                        ; implicit-def: $sgpr27
                                        ; implicit-def: $sgpr28
                                        ; implicit-def: $sgpr29
	v_lshlrev_b64 v[12:13], 2, v[8:9]
	v_add_co_u32 v12, vcc_lo, s10, v12
	v_add_co_ci_u32_e64 v13, null, s11, v13, vcc_lo
	global_load_dword v12, v[12:13], off
	v_mov_b32_e32 v13, 0x100
	s_waitcnt vmcnt(0)
	v_mul_lo_u32 v15, 0x67, v12
	s_branch .LBB35_55
.LBB35_47:                              ;   in Loop: Header=BB35_55 Depth=3
	s_or_b32 exec_lo, exec_lo, s40
	s_orn2_b32 s38, s38, exec_lo
	s_orn2_b32 s39, s39, exec_lo
.LBB35_48:                              ;   in Loop: Header=BB35_55 Depth=3
	s_or_b32 exec_lo, exec_lo, s37
	s_and_b32 s38, s38, exec_lo
	s_orn2_b32 s37, s39, exec_lo
.LBB35_49:                              ;   in Loop: Header=BB35_55 Depth=3
	s_or_b32 exec_lo, exec_lo, s36
	s_orn2_b32 s36, s38, exec_lo
	s_orn2_b32 s37, s37, exec_lo
.LBB35_50:                              ;   in Loop: Header=BB35_55 Depth=3
	s_or_b32 exec_lo, exec_lo, s35
	s_and_b32 s36, s36, exec_lo
	s_orn2_b32 s35, s37, exec_lo
.LBB35_51:                              ;   in Loop: Header=BB35_55 Depth=3
	s_or_b32 exec_lo, exec_lo, s34
	s_orn2_b32 s34, s36, exec_lo
	s_orn2_b32 s35, s35, exec_lo
.LBB35_52:                              ;   in Loop: Header=BB35_55 Depth=3
	s_or_b32 exec_lo, exec_lo, s33
	s_and_b32 s34, s34, exec_lo
	s_orn2_b32 s33, s35, exec_lo
.LBB35_53:                              ;   in Loop: Header=BB35_55 Depth=3
	s_or_b32 exec_lo, exec_lo, s31
	s_andn2_b32 s29, s29, exec_lo
	s_and_b32 s31, s34, exec_lo
	s_andn2_b32 s28, s28, exec_lo
	s_and_b32 s33, s33, exec_lo
	s_or_b32 s29, s29, s31
	s_or_b32 s28, s28, s33
.LBB35_54:                              ;   in Loop: Header=BB35_55 Depth=3
	s_or_b32 exec_lo, exec_lo, s30
	s_and_b32 s30, exec_lo, s28
	s_or_b32 s26, s30, s26
	s_andn2_b32 s27, s27, exec_lo
	s_and_b32 s30, s29, exec_lo
	s_or_b32 s27, s27, s30
	s_andn2_b32 exec_lo, exec_lo, s26
	s_cbranch_execz .LBB35_64
.LBB35_55:                              ;   Parent Loop BB35_40 Depth=1
                                        ;     Parent Loop BB35_46 Depth=2
                                        ; =>    This Inner Loop Header: Depth=3
	v_and_b32_e32 v14, 0xff, v15
	s_or_b32 s29, s29, exec_lo
	s_or_b32 s28, s28, exec_lo
	s_mov_b32 s30, exec_lo
	v_lshl_add_u32 v22, v14, 2, v19
	ds_read_b32 v22, v22
	s_waitcnt lgkmcnt(0)
	v_cmpx_ne_u32_e32 -1, v22
	s_cbranch_execz .LBB35_54
; %bb.56:                               ;   in Loop: Header=BB35_55 Depth=3
	s_mov_b32 s33, -1
	s_mov_b32 s34, 0
	s_mov_b32 s31, exec_lo
	v_cmpx_ne_u32_e64 v22, v12
	s_cbranch_execz .LBB35_53
; %bb.57:                               ;   in Loop: Header=BB35_55 Depth=3
	v_add_nc_u32_e32 v14, 1, v15
	s_mov_b32 s35, -1
	s_mov_b32 s34, -1
	s_mov_b32 s33, exec_lo
	v_and_b32_e32 v14, 0xff, v14
	v_lshl_add_u32 v22, v14, 2, v19
	ds_read_b32 v22, v22
	s_waitcnt lgkmcnt(0)
	v_cmpx_ne_u32_e32 -1, v22
	s_cbranch_execz .LBB35_52
; %bb.58:                               ;   in Loop: Header=BB35_55 Depth=3
	s_mov_b32 s36, 0
	s_mov_b32 s34, exec_lo
	v_cmpx_ne_u32_e64 v22, v12
	s_cbranch_execz .LBB35_51
; %bb.59:                               ;   in Loop: Header=BB35_55 Depth=3
	v_add_nc_u32_e32 v14, 2, v15
	s_mov_b32 s37, -1
	s_mov_b32 s36, -1
	s_mov_b32 s35, exec_lo
	v_and_b32_e32 v14, 0xff, v14
	v_lshl_add_u32 v22, v14, 2, v19
	ds_read_b32 v22, v22
	s_waitcnt lgkmcnt(0)
	v_cmpx_ne_u32_e32 -1, v22
	s_cbranch_execz .LBB35_50
; %bb.60:                               ;   in Loop: Header=BB35_55 Depth=3
	s_mov_b32 s38, 0
	s_mov_b32 s36, exec_lo
	v_cmpx_ne_u32_e64 v22, v12
	s_cbranch_execz .LBB35_49
; %bb.61:                               ;   in Loop: Header=BB35_55 Depth=3
	v_add_nc_u32_e32 v14, 3, v15
	s_mov_b32 s39, -1
	s_mov_b32 s38, -1
	s_mov_b32 s37, exec_lo
	v_and_b32_e32 v14, 0xff, v14
	v_lshl_add_u32 v15, v14, 2, v19
	ds_read_b32 v22, v15
                                        ; implicit-def: $vgpr15
	s_waitcnt lgkmcnt(0)
	v_cmpx_ne_u32_e32 -1, v22
	s_cbranch_execz .LBB35_48
; %bb.62:                               ;   in Loop: Header=BB35_55 Depth=3
	s_mov_b32 s38, 0
	s_mov_b32 s40, exec_lo
                                        ; implicit-def: $vgpr15
	v_cmpx_ne_u32_e64 v22, v12
	s_cbranch_execz .LBB35_47
; %bb.63:                               ;   in Loop: Header=BB35_55 Depth=3
	v_add_nc_u32_e32 v13, -4, v13
	v_add_nc_u32_e32 v15, 1, v14
	s_mov_b32 s38, exec_lo
	v_cmp_eq_u32_e32 vcc_lo, 0, v13
	s_orn2_b32 s39, vcc_lo, exec_lo
	s_branch .LBB35_47
.LBB35_64:                              ;   in Loop: Header=BB35_46 Depth=2
	s_or_b32 exec_lo, exec_lo, s26
	s_xor_b32 s26, s27, -1
	s_and_saveexec_b32 s27, s26
	s_xor_b32 s26, exec_lo, s27
	s_cbranch_execz .LBB35_45
; %bb.65:                               ;   in Loop: Header=BB35_46 Depth=2
	v_lshl_add_u32 v12, v14, 2, v0
	v_lshlrev_b64 v[14:15], 3, v[8:9]
	ds_read_b32 v12, v12
	v_add_co_u32 v14, vcc_lo, s12, v14
	v_add_co_ci_u32_e64 v15, null, s13, v15, vcc_lo
	s_waitcnt lgkmcnt(0)
	v_ashrrev_i32_e32 v13, 31, v12
	v_lshlrev_b64 v[12:13], 3, v[12:13]
	v_add_co_u32 v12, vcc_lo, s12, v12
	v_add_co_ci_u32_e64 v13, null, s13, v13, vcc_lo
	s_clause 0x1
	global_load_dwordx2 v[14:15], v[14:15], off
	global_load_dwordx2 v[22:23], v[12:13], off
	s_waitcnt vmcnt(0)
	v_fma_f32 v22, -v10, v14, v22
	v_fma_f32 v9, -v11, v14, v23
	v_fmac_f32_e32 v22, v11, v15
	v_fma_f32 v23, -v10, v15, v9
	global_store_dwordx2 v[12:13], v[22:23], off
	s_branch .LBB35_45
.LBB35_66:
	s_or_b32 exec_lo, exec_lo, s6
	s_mov_b32 s6, exec_lo
	s_waitcnt_vscnt null, 0x0
	buffer_gl0_inv
	v_cmpx_lt_i32_e32 -1, v6
	s_cbranch_execz .LBB35_88
; %bb.67:
	v_mov_b32_e32 v7, 0
	s_mov_b32 s0, exec_lo
	v_lshlrev_b64 v[8:9], 3, v[6:7]
	v_add_co_u32 v10, vcc_lo, s12, v8
	v_add_co_ci_u32_e64 v11, null, s13, v9, vcc_lo
	global_load_dwordx2 v[8:9], v[10:11], off
	s_waitcnt vmcnt(0)
	v_cmp_gt_f32_e32 vcc_lo, 0, v8
	v_cndmask_b32_e64 v0, v8, -v8, vcc_lo
	v_cmp_gt_f32_e32 vcc_lo, 0, v9
	v_cndmask_b32_e64 v6, v9, -v9, vcc_lo
	v_cmpx_ngt_f32_e32 v0, v6
	s_xor_b32 s7, exec_lo, s0
	s_cbranch_execz .LBB35_71
; %bb.68:
	s_mov_b32 s8, exec_lo
	v_cmpx_neq_f32_e32 0, v9
	s_cbranch_execz .LBB35_70
; %bb.69:
	v_div_scale_f32 v7, null, v6, v6, v0
	v_div_scale_f32 v14, vcc_lo, v0, v6, v0
	v_rcp_f32_e32 v12, v7
	v_fma_f32 v13, -v7, v12, 1.0
	v_fmac_f32_e32 v12, v13, v12
	v_mul_f32_e32 v13, v14, v12
	v_fma_f32 v15, -v7, v13, v14
	v_fmac_f32_e32 v13, v15, v12
	v_fma_f32 v7, -v7, v13, v14
	v_div_fmas_f32 v7, v7, v12, v13
	v_div_fixup_f32 v0, v7, v6, v0
	v_fma_f32 v0, v0, v0, 1.0
	v_mul_f32_e32 v7, 0x4f800000, v0
	v_cmp_gt_f32_e32 vcc_lo, 0xf800000, v0
	v_cndmask_b32_e32 v0, v0, v7, vcc_lo
	v_sqrt_f32_e32 v7, v0
	v_add_nc_u32_e32 v12, -1, v7
	v_add_nc_u32_e32 v13, 1, v7
	v_fma_f32 v14, -v12, v7, v0
	v_fma_f32 v15, -v13, v7, v0
	v_cmp_ge_f32_e64 s0, 0, v14
	v_cndmask_b32_e64 v7, v7, v12, s0
	v_cmp_lt_f32_e64 s0, 0, v15
	v_cndmask_b32_e64 v7, v7, v13, s0
	v_mul_f32_e32 v12, 0x37800000, v7
	v_cndmask_b32_e32 v7, v7, v12, vcc_lo
	v_cmp_class_f32_e64 vcc_lo, v0, 0x260
	v_cndmask_b32_e32 v0, v7, v0, vcc_lo
	v_mul_f32_e32 v7, v6, v0
.LBB35_70:
	s_or_b32 exec_lo, exec_lo, s8
                                        ; implicit-def: $vgpr0
                                        ; implicit-def: $vgpr6
.LBB35_71:
	s_andn2_saveexec_b32 s7, s7
	s_cbranch_execz .LBB35_73
; %bb.72:
	v_div_scale_f32 v7, null, v0, v0, v6
	v_div_scale_f32 v14, vcc_lo, v6, v0, v6
	v_rcp_f32_e32 v12, v7
	v_fma_f32 v13, -v7, v12, 1.0
	v_fmac_f32_e32 v12, v13, v12
	v_mul_f32_e32 v13, v14, v12
	v_fma_f32 v15, -v7, v13, v14
	v_fmac_f32_e32 v13, v15, v12
	v_fma_f32 v7, -v7, v13, v14
	v_div_fmas_f32 v7, v7, v12, v13
	v_div_fixup_f32 v6, v7, v0, v6
	v_fma_f32 v6, v6, v6, 1.0
	v_mul_f32_e32 v7, 0x4f800000, v6
	v_cmp_gt_f32_e32 vcc_lo, 0xf800000, v6
	v_cndmask_b32_e32 v6, v6, v7, vcc_lo
	v_sqrt_f32_e32 v7, v6
	v_add_nc_u32_e32 v12, -1, v7
	v_add_nc_u32_e32 v13, 1, v7
	v_fma_f32 v14, -v12, v7, v6
	v_fma_f32 v15, -v13, v7, v6
	v_cmp_ge_f32_e64 s0, 0, v14
	v_cndmask_b32_e64 v7, v7, v12, s0
	v_cmp_lt_f32_e64 s0, 0, v15
	v_cndmask_b32_e64 v7, v7, v13, s0
	v_mul_f32_e32 v12, 0x37800000, v7
	v_cndmask_b32_e32 v7, v7, v12, vcc_lo
	v_cmp_class_f32_e64 vcc_lo, v6, 0x260
	v_cndmask_b32_e32 v6, v7, v6, vcc_lo
	v_mul_f32_e32 v7, v0, v6
.LBB35_73:
	s_or_b32 exec_lo, exec_lo, s7
	v_cvt_f64_f32_e32 v[6:7], v7
	v_cmp_ne_u32_e32 vcc_lo, 1, v18
	v_cmp_eq_u32_e64 s0, 0, v16
	s_mov_b32 s7, -1
	s_cbranch_vccnz .LBB35_77
; %bb.74:
	v_cvt_f64_f32_e32 v[12:13], v17
	s_cmp_eq_u64 s[24:25], 8
	s_cselect_b32 vcc_lo, -1, 0
	v_cndmask_b32_e32 v4, v13, v4, vcc_lo
	v_cndmask_b32_e32 v3, v12, v3, vcc_lo
	v_cmp_ge_f64_e32 vcc_lo, v[3:4], v[6:7]
	s_and_b32 s8, s0, vcc_lo
	s_and_saveexec_b32 s7, s8
	s_cbranch_execz .LBB35_76
; %bb.75:
	v_mov_b32_e32 v3, s1
	v_mov_b32_e32 v4, s3
	global_store_dwordx2 v[10:11], v[3:4], off
	s_waitcnt_vscnt null, 0x0
	buffer_gl1_inv
	buffer_gl0_inv
.LBB35_76:
	s_or_b32 exec_lo, exec_lo, s7
	s_mov_b32 s7, 0
.LBB35_77:
	s_andn2_b32 vcc_lo, exec_lo, s7
	s_cbranch_vccnz .LBB35_88
; %bb.78:
	s_load_dwordx2 s[4:5], s[4:5], 0x48
	v_add_nc_u32_e32 v0, s2, v5
	s_waitcnt lgkmcnt(0)
	v_cmp_ge_f64_e32 vcc_lo, s[4:5], v[6:7]
	s_and_b32 s2, s0, vcc_lo
	s_and_saveexec_b32 s1, s2
	s_cbranch_execz .LBB35_83
; %bb.79:
	s_mov_b32 s3, exec_lo
	s_brev_b32 s2, -2
.LBB35_80:                              ; =>This Inner Loop Header: Depth=1
	s_ff1_i32_b32 s4, s3
	v_readlane_b32 s5, v0, s4
	s_lshl_b32 s4, 1, s4
	s_andn2_b32 s3, s3, s4
	s_min_i32 s2, s2, s5
	s_cmp_lg_u32 s3, 0
	s_cbranch_scc1 .LBB35_80
; %bb.81:
	v_mbcnt_lo_u32_b32 v3, exec_lo, 0
	s_mov_b32 s3, exec_lo
	v_cmpx_eq_u32_e32 0, v3
	s_xor_b32 s3, exec_lo, s3
	s_cbranch_execz .LBB35_83
; %bb.82:
	v_mov_b32_e32 v3, 0
	v_mov_b32_e32 v4, s2
	global_atomic_smin v3, v4, s[22:23]
.LBB35_83:
	s_or_b32 exec_lo, exec_lo, s1
	v_cmp_eq_f32_e32 vcc_lo, 0, v8
	v_cmp_eq_f32_e64 s1, 0, v9
	s_and_b32 s1, vcc_lo, s1
	s_and_b32 s0, s0, s1
	s_and_b32 exec_lo, exec_lo, s0
	s_cbranch_execz .LBB35_88
; %bb.84:
	s_mov_b32 s1, exec_lo
	s_brev_b32 s0, -2
.LBB35_85:                              ; =>This Inner Loop Header: Depth=1
	s_ff1_i32_b32 s2, s1
	v_readlane_b32 s3, v0, s2
	s_lshl_b32 s2, 1, s2
	s_andn2_b32 s1, s1, s2
	s_min_i32 s0, s0, s3
	s_cmp_lg_u32 s1, 0
	s_cbranch_scc1 .LBB35_85
; %bb.86:
	v_mbcnt_lo_u32_b32 v0, exec_lo, 0
	s_mov_b32 s1, exec_lo
	v_cmpx_eq_u32_e32 0, v0
	s_xor_b32 s1, exec_lo, s1
	s_cbranch_execz .LBB35_88
; %bb.87:
	v_mov_b32_e32 v0, 0
	v_mov_b32_e32 v3, s0
	global_atomic_smin v0, v3, s[20:21]
.LBB35_88:
	s_or_b32 exec_lo, exec_lo, s6
	v_cmp_eq_u32_e32 vcc_lo, 0, v16
	s_waitcnt_vscnt null, 0x0
	buffer_gl1_inv
	buffer_gl0_inv
	s_and_b32 exec_lo, exec_lo, vcc_lo
	s_cbranch_execz .LBB35_90
; %bb.89:
	v_add_co_u32 v0, vcc_lo, s16, v1
	v_add_co_ci_u32_e64 v1, null, s17, v2, vcc_lo
	v_mov_b32_e32 v2, 1
	global_store_dword v[0:1], v2, off
.LBB35_90:
	s_endpgm
	.section	.rodata,"a",@progbits
	.p2align	6, 0x0
	.amdhsa_kernel _ZN9rocsparseL12csrilu0_hashILj256ELj64ELj4E21rocsparse_complex_numIfEEEviPKiS4_PT2_S4_PiS4_S7_S7_d21rocsparse_index_base_imNS_24const_host_device_scalarIfEENS9_IdEENS9_IS5_EEb
		.amdhsa_group_segment_fixed_size 8192
		.amdhsa_private_segment_fixed_size 0
		.amdhsa_kernarg_size 124
		.amdhsa_user_sgpr_count 6
		.amdhsa_user_sgpr_private_segment_buffer 1
		.amdhsa_user_sgpr_dispatch_ptr 0
		.amdhsa_user_sgpr_queue_ptr 0
		.amdhsa_user_sgpr_kernarg_segment_ptr 1
		.amdhsa_user_sgpr_dispatch_id 0
		.amdhsa_user_sgpr_flat_scratch_init 0
		.amdhsa_user_sgpr_private_segment_size 0
		.amdhsa_wavefront_size32 1
		.amdhsa_uses_dynamic_stack 0
		.amdhsa_system_sgpr_private_segment_wavefront_offset 0
		.amdhsa_system_sgpr_workgroup_id_x 1
		.amdhsa_system_sgpr_workgroup_id_y 0
		.amdhsa_system_sgpr_workgroup_id_z 0
		.amdhsa_system_sgpr_workgroup_info 0
		.amdhsa_system_vgpr_workitem_id 0
		.amdhsa_next_free_vgpr 27
		.amdhsa_next_free_sgpr 41
		.amdhsa_reserve_vcc 1
		.amdhsa_reserve_flat_scratch 0
		.amdhsa_float_round_mode_32 0
		.amdhsa_float_round_mode_16_64 0
		.amdhsa_float_denorm_mode_32 3
		.amdhsa_float_denorm_mode_16_64 3
		.amdhsa_dx10_clamp 1
		.amdhsa_ieee_mode 1
		.amdhsa_fp16_overflow 0
		.amdhsa_workgroup_processor_mode 1
		.amdhsa_memory_ordered 1
		.amdhsa_forward_progress 1
		.amdhsa_shared_vgpr_count 0
		.amdhsa_exception_fp_ieee_invalid_op 0
		.amdhsa_exception_fp_denorm_src 0
		.amdhsa_exception_fp_ieee_div_zero 0
		.amdhsa_exception_fp_ieee_overflow 0
		.amdhsa_exception_fp_ieee_underflow 0
		.amdhsa_exception_fp_ieee_inexact 0
		.amdhsa_exception_int_div_zero 0
	.end_amdhsa_kernel
	.section	.text._ZN9rocsparseL12csrilu0_hashILj256ELj64ELj4E21rocsparse_complex_numIfEEEviPKiS4_PT2_S4_PiS4_S7_S7_d21rocsparse_index_base_imNS_24const_host_device_scalarIfEENS9_IdEENS9_IS5_EEb,"axG",@progbits,_ZN9rocsparseL12csrilu0_hashILj256ELj64ELj4E21rocsparse_complex_numIfEEEviPKiS4_PT2_S4_PiS4_S7_S7_d21rocsparse_index_base_imNS_24const_host_device_scalarIfEENS9_IdEENS9_IS5_EEb,comdat
.Lfunc_end35:
	.size	_ZN9rocsparseL12csrilu0_hashILj256ELj64ELj4E21rocsparse_complex_numIfEEEviPKiS4_PT2_S4_PiS4_S7_S7_d21rocsparse_index_base_imNS_24const_host_device_scalarIfEENS9_IdEENS9_IS5_EEb, .Lfunc_end35-_ZN9rocsparseL12csrilu0_hashILj256ELj64ELj4E21rocsparse_complex_numIfEEEviPKiS4_PT2_S4_PiS4_S7_S7_d21rocsparse_index_base_imNS_24const_host_device_scalarIfEENS9_IdEENS9_IS5_EEb
                                        ; -- End function
	.set _ZN9rocsparseL12csrilu0_hashILj256ELj64ELj4E21rocsparse_complex_numIfEEEviPKiS4_PT2_S4_PiS4_S7_S7_d21rocsparse_index_base_imNS_24const_host_device_scalarIfEENS9_IdEENS9_IS5_EEb.num_vgpr, 27
	.set _ZN9rocsparseL12csrilu0_hashILj256ELj64ELj4E21rocsparse_complex_numIfEEEviPKiS4_PT2_S4_PiS4_S7_S7_d21rocsparse_index_base_imNS_24const_host_device_scalarIfEENS9_IdEENS9_IS5_EEb.num_agpr, 0
	.set _ZN9rocsparseL12csrilu0_hashILj256ELj64ELj4E21rocsparse_complex_numIfEEEviPKiS4_PT2_S4_PiS4_S7_S7_d21rocsparse_index_base_imNS_24const_host_device_scalarIfEENS9_IdEENS9_IS5_EEb.numbered_sgpr, 41
	.set _ZN9rocsparseL12csrilu0_hashILj256ELj64ELj4E21rocsparse_complex_numIfEEEviPKiS4_PT2_S4_PiS4_S7_S7_d21rocsparse_index_base_imNS_24const_host_device_scalarIfEENS9_IdEENS9_IS5_EEb.num_named_barrier, 0
	.set _ZN9rocsparseL12csrilu0_hashILj256ELj64ELj4E21rocsparse_complex_numIfEEEviPKiS4_PT2_S4_PiS4_S7_S7_d21rocsparse_index_base_imNS_24const_host_device_scalarIfEENS9_IdEENS9_IS5_EEb.private_seg_size, 0
	.set _ZN9rocsparseL12csrilu0_hashILj256ELj64ELj4E21rocsparse_complex_numIfEEEviPKiS4_PT2_S4_PiS4_S7_S7_d21rocsparse_index_base_imNS_24const_host_device_scalarIfEENS9_IdEENS9_IS5_EEb.uses_vcc, 1
	.set _ZN9rocsparseL12csrilu0_hashILj256ELj64ELj4E21rocsparse_complex_numIfEEEviPKiS4_PT2_S4_PiS4_S7_S7_d21rocsparse_index_base_imNS_24const_host_device_scalarIfEENS9_IdEENS9_IS5_EEb.uses_flat_scratch, 0
	.set _ZN9rocsparseL12csrilu0_hashILj256ELj64ELj4E21rocsparse_complex_numIfEEEviPKiS4_PT2_S4_PiS4_S7_S7_d21rocsparse_index_base_imNS_24const_host_device_scalarIfEENS9_IdEENS9_IS5_EEb.has_dyn_sized_stack, 0
	.set _ZN9rocsparseL12csrilu0_hashILj256ELj64ELj4E21rocsparse_complex_numIfEEEviPKiS4_PT2_S4_PiS4_S7_S7_d21rocsparse_index_base_imNS_24const_host_device_scalarIfEENS9_IdEENS9_IS5_EEb.has_recursion, 0
	.set _ZN9rocsparseL12csrilu0_hashILj256ELj64ELj4E21rocsparse_complex_numIfEEEviPKiS4_PT2_S4_PiS4_S7_S7_d21rocsparse_index_base_imNS_24const_host_device_scalarIfEENS9_IdEENS9_IS5_EEb.has_indirect_call, 0
	.section	.AMDGPU.csdata,"",@progbits
; Kernel info:
; codeLenInByte = 3280
; TotalNumSgprs: 43
; NumVgprs: 27
; ScratchSize: 0
; MemoryBound: 0
; FloatMode: 240
; IeeeMode: 1
; LDSByteSize: 8192 bytes/workgroup (compile time only)
; SGPRBlocks: 0
; VGPRBlocks: 3
; NumSGPRsForWavesPerEU: 43
; NumVGPRsForWavesPerEU: 27
; Occupancy: 16
; WaveLimiterHint : 1
; COMPUTE_PGM_RSRC2:SCRATCH_EN: 0
; COMPUTE_PGM_RSRC2:USER_SGPR: 6
; COMPUTE_PGM_RSRC2:TRAP_HANDLER: 0
; COMPUTE_PGM_RSRC2:TGID_X_EN: 1
; COMPUTE_PGM_RSRC2:TGID_Y_EN: 0
; COMPUTE_PGM_RSRC2:TGID_Z_EN: 0
; COMPUTE_PGM_RSRC2:TIDIG_COMP_CNT: 0
	.section	.text._ZN9rocsparseL12csrilu0_hashILj256ELj64ELj8E21rocsparse_complex_numIfEEEviPKiS4_PT2_S4_PiS4_S7_S7_d21rocsparse_index_base_imNS_24const_host_device_scalarIfEENS9_IdEENS9_IS5_EEb,"axG",@progbits,_ZN9rocsparseL12csrilu0_hashILj256ELj64ELj8E21rocsparse_complex_numIfEEEviPKiS4_PT2_S4_PiS4_S7_S7_d21rocsparse_index_base_imNS_24const_host_device_scalarIfEENS9_IdEENS9_IS5_EEb,comdat
	.globl	_ZN9rocsparseL12csrilu0_hashILj256ELj64ELj8E21rocsparse_complex_numIfEEEviPKiS4_PT2_S4_PiS4_S7_S7_d21rocsparse_index_base_imNS_24const_host_device_scalarIfEENS9_IdEENS9_IS5_EEb ; -- Begin function _ZN9rocsparseL12csrilu0_hashILj256ELj64ELj8E21rocsparse_complex_numIfEEEviPKiS4_PT2_S4_PiS4_S7_S7_d21rocsparse_index_base_imNS_24const_host_device_scalarIfEENS9_IdEENS9_IS5_EEb
	.p2align	8
	.type	_ZN9rocsparseL12csrilu0_hashILj256ELj64ELj8E21rocsparse_complex_numIfEEEviPKiS4_PT2_S4_PiS4_S7_S7_d21rocsparse_index_base_imNS_24const_host_device_scalarIfEENS9_IdEENS9_IS5_EEb,@function
_ZN9rocsparseL12csrilu0_hashILj256ELj64ELj8E21rocsparse_complex_numIfEEEviPKiS4_PT2_S4_PiS4_S7_S7_d21rocsparse_index_base_imNS_24const_host_device_scalarIfEENS9_IdEENS9_IS5_EEb: ; @_ZN9rocsparseL12csrilu0_hashILj256ELj64ELj8E21rocsparse_complex_numIfEEEviPKiS4_PT2_S4_PiS4_S7_S7_d21rocsparse_index_base_imNS_24const_host_device_scalarIfEENS9_IdEENS9_IS5_EEb
; %bb.0:
	s_clause 0x2
	s_load_dword s0, s[4:5], 0x78
	s_load_dwordx2 s[2:3], s[4:5], 0x50
	s_load_dwordx8 s[24:31], s[4:5], 0x58
	s_waitcnt lgkmcnt(0)
	s_bitcmp1_b32 s0, 0
	s_cselect_b32 s7, -1, 0
	s_cmp_eq_u32 s3, 0
	s_cselect_b32 s9, -1, 0
	s_cmp_lg_u32 s3, 0
	s_cselect_b32 s3, -1, 0
	s_or_b32 s10, s9, s7
	s_xor_b32 s8, s10, -1
	s_and_b32 s0, s9, exec_lo
	s_cselect_b32 s1, 0, s29
	s_cselect_b32 s0, 0, s28
	s_and_b32 vcc_lo, exec_lo, s10
	s_cbranch_vccnz .LBB36_2
; %bb.1:
	s_load_dword s0, s[26:27], 0x0
	s_waitcnt lgkmcnt(0)
	v_mov_b32_e32 v17, s0
	s_mov_b64 s[0:1], s[28:29]
	v_mov_b32_e32 v4, s1
	v_mov_b32_e32 v3, s0
	s_andn2_b32 vcc_lo, exec_lo, s8
	s_cbranch_vccz .LBB36_3
	s_branch .LBB36_4
.LBB36_2:
	v_cndmask_b32_e64 v17, s26, 0, s9
	v_mov_b32_e32 v4, s1
	v_mov_b32_e32 v3, s0
	s_andn2_b32 vcc_lo, exec_lo, s8
	s_cbranch_vccnz .LBB36_4
.LBB36_3:
	v_mov_b32_e32 v1, s28
	v_mov_b32_e32 v2, s29
	flat_load_dwordx2 v[3:4], v[1:2]
.LBB36_4:
	v_cndmask_b32_e64 v18, 0, 1, s3
	s_mov_b32 s1, 0
	s_andn2_b32 vcc_lo, exec_lo, s3
	s_mov_b32 s3, 0
	s_cbranch_vccnz .LBB36_10
; %bb.5:
	s_xor_b32 s0, s7, -1
	s_mov_b32 s1, s30
	v_cndmask_b32_e64 v1, 0, 1, s0
	s_andn2_b32 vcc_lo, exec_lo, s0
	s_cbranch_vccnz .LBB36_7
; %bb.6:
	s_load_dword s1, s[30:31], 0x0
.LBB36_7:
	v_cmp_ne_u32_e32 vcc_lo, 1, v1
	s_cbranch_vccnz .LBB36_9
; %bb.8:
	s_load_dword s31, s[30:31], 0x4
.LBB36_9:
	s_waitcnt lgkmcnt(0)
	s_mov_b32 s3, s31
.LBB36_10:
	v_lshrrev_b32_e32 v1, 6, v0
	v_and_b32_e32 v16, 63, v0
	s_mov_b32 s0, 0
	v_lshlrev_b32_e32 v5, 11, v1
	v_lshlrev_b32_e32 v6, 2, v16
	v_or_b32_e32 v2, 0xffffffc0, v16
	v_or3_b32 v5, v5, v6, 0x2000
	v_mov_b32_e32 v6, -1
.LBB36_11:                              ; =>This Inner Loop Header: Depth=1
	v_add_nc_u32_e32 v2, 64, v2
	ds_write_b32 v5, v6
	v_add_nc_u32_e32 v5, 0x100, v5
	v_cmp_lt_u32_e32 vcc_lo, 0x1bf, v2
	s_or_b32 s0, vcc_lo, s0
	s_andn2_b32 exec_lo, exec_lo, s0
	s_cbranch_execnz .LBB36_11
; %bb.12:
	s_or_b32 exec_lo, exec_lo, s0
	s_load_dword s0, s[4:5], 0x0
	s_lshl_b32 s6, s6, 2
	s_waitcnt vmcnt(0) lgkmcnt(0)
	buffer_gl0_inv
	v_and_or_b32 v1, 0x3fffffc, s6, v1
	v_cmp_gt_i32_e32 vcc_lo, s0, v1
	s_and_saveexec_b32 s0, vcc_lo
	s_cbranch_execz .LBB36_90
; %bb.13:
	s_load_dwordx16 s[8:23], s[4:5], 0x8
	v_lshlrev_b32_e32 v1, 2, v1
	v_lshlrev_b32_e32 v0, 5, v0
	s_mov_b32 s0, exec_lo
	v_and_b32_e32 v0, 0x1800, v0
	v_or_b32_e32 v19, 0x2000, v0
	s_waitcnt lgkmcnt(0)
	global_load_dword v5, v1, s[18:19]
	s_waitcnt vmcnt(0)
	v_ashrrev_i32_e32 v6, 31, v5
	v_lshlrev_b64 v[1:2], 2, v[5:6]
	v_add_co_u32 v6, vcc_lo, s8, v1
	v_add_co_ci_u32_e64 v7, null, s9, v2, vcc_lo
	v_add_co_u32 v9, vcc_lo, s14, v1
	v_add_co_ci_u32_e64 v10, null, s15, v2, vcc_lo
	global_load_dwordx2 v[7:8], v[6:7], off
	global_load_dword v6, v[9:10], off
	s_waitcnt vmcnt(1)
	v_subrev_nc_u32_e32 v7, s2, v7
	v_subrev_nc_u32_e32 v10, s2, v8
	v_add_nc_u32_e32 v8, v7, v16
	v_cmpx_lt_i32_e64 v8, v10
	s_cbranch_execz .LBB36_36
; %bb.14:
	v_mov_b32_e32 v11, -1
	s_mov_b32 s6, 0
	s_branch .LBB36_16
.LBB36_15:                              ;   in Loop: Header=BB36_16 Depth=1
	s_or_b32 exec_lo, exec_lo, s7
	v_add_nc_u32_e32 v8, 64, v8
	v_cmp_ge_i32_e32 vcc_lo, v8, v10
	s_or_b32 s6, vcc_lo, s6
	s_andn2_b32 exec_lo, exec_lo, s6
	s_cbranch_execz .LBB36_36
.LBB36_16:                              ; =>This Loop Header: Depth=1
                                        ;     Child Loop BB36_25 Depth 2
	v_ashrrev_i32_e32 v9, 31, v8
	s_mov_b32 s7, 0
                                        ; implicit-def: $sgpr18
                                        ; implicit-def: $sgpr19
                                        ; implicit-def: $sgpr26
	v_lshlrev_b64 v[12:13], 2, v[8:9]
	v_add_co_u32 v12, vcc_lo, s10, v12
	v_add_co_ci_u32_e64 v13, null, s11, v13, vcc_lo
	global_load_dword v9, v[12:13], off
	v_mov_b32_e32 v12, 0x200
	s_waitcnt vmcnt(0)
	v_mul_lo_u32 v14, 0x67, v9
	s_branch .LBB36_25
.LBB36_17:                              ;   in Loop: Header=BB36_25 Depth=2
	s_or_b32 exec_lo, exec_lo, s37
	s_orn2_b32 s35, s35, exec_lo
	s_orn2_b32 s36, s36, exec_lo
.LBB36_18:                              ;   in Loop: Header=BB36_25 Depth=2
	s_or_b32 exec_lo, exec_lo, s34
	s_and_b32 s35, s35, exec_lo
	s_orn2_b32 s34, s36, exec_lo
.LBB36_19:                              ;   in Loop: Header=BB36_25 Depth=2
	s_or_b32 exec_lo, exec_lo, s33
	s_orn2_b32 s33, s35, exec_lo
	s_orn2_b32 s34, s34, exec_lo
.LBB36_20:                              ;   in Loop: Header=BB36_25 Depth=2
	s_or_b32 exec_lo, exec_lo, s31
	s_and_b32 s33, s33, exec_lo
	s_orn2_b32 s31, s34, exec_lo
.LBB36_21:                              ;   in Loop: Header=BB36_25 Depth=2
	s_or_b32 exec_lo, exec_lo, s30
	s_orn2_b32 s30, s33, exec_lo
	s_orn2_b32 s31, s31, exec_lo
.LBB36_22:                              ;   in Loop: Header=BB36_25 Depth=2
	s_or_b32 exec_lo, exec_lo, s29
	s_and_b32 s30, s30, exec_lo
	s_orn2_b32 s29, s31, exec_lo
.LBB36_23:                              ;   in Loop: Header=BB36_25 Depth=2
	s_or_b32 exec_lo, exec_lo, s28
	s_andn2_b32 s26, s26, exec_lo
	s_and_b32 s28, s30, exec_lo
	s_andn2_b32 s19, s19, exec_lo
	s_and_b32 s29, s29, exec_lo
	s_or_b32 s26, s26, s28
	s_or_b32 s19, s19, s29
.LBB36_24:                              ;   in Loop: Header=BB36_25 Depth=2
	s_or_b32 exec_lo, exec_lo, s27
	s_and_b32 s27, exec_lo, s19
	s_or_b32 s7, s27, s7
	s_andn2_b32 s18, s18, exec_lo
	s_and_b32 s27, s26, exec_lo
	s_or_b32 s18, s18, s27
	s_andn2_b32 exec_lo, exec_lo, s7
	s_cbranch_execz .LBB36_34
.LBB36_25:                              ;   Parent Loop BB36_16 Depth=1
                                        ; =>  This Inner Loop Header: Depth=2
	v_and_b32_e32 v13, 0x1ff, v14
	s_or_b32 s26, s26, exec_lo
	s_or_b32 s19, s19, exec_lo
	s_mov_b32 s27, exec_lo
	v_lshl_add_u32 v15, v13, 2, v19
	ds_read_b32 v20, v15
	s_waitcnt lgkmcnt(0)
	v_cmpx_ne_u32_e64 v20, v9
	s_cbranch_execz .LBB36_24
; %bb.26:                               ;   in Loop: Header=BB36_25 Depth=2
	ds_cmpst_rtn_b32 v15, v15, v11, v9
	s_mov_b32 s29, -1
	s_mov_b32 s30, 0
	s_mov_b32 s28, exec_lo
	s_waitcnt lgkmcnt(0)
	v_cmpx_ne_u32_e32 -1, v15
	s_cbranch_execz .LBB36_23
; %bb.27:                               ;   in Loop: Header=BB36_25 Depth=2
	v_add_nc_u32_e32 v13, 1, v14
	s_mov_b32 s31, -1
	s_mov_b32 s30, -1
	s_mov_b32 s29, exec_lo
	v_and_b32_e32 v13, 0x1ff, v13
	v_lshl_add_u32 v15, v13, 2, v19
	ds_read_b32 v20, v15
	s_waitcnt lgkmcnt(0)
	v_cmpx_ne_u32_e64 v20, v9
	s_cbranch_execz .LBB36_22
; %bb.28:                               ;   in Loop: Header=BB36_25 Depth=2
	ds_cmpst_rtn_b32 v15, v15, v11, v9
	s_mov_b32 s33, 0
	s_mov_b32 s30, exec_lo
	s_waitcnt lgkmcnt(0)
	v_cmpx_ne_u32_e32 -1, v15
	s_cbranch_execz .LBB36_21
; %bb.29:                               ;   in Loop: Header=BB36_25 Depth=2
	v_add_nc_u32_e32 v13, 2, v14
	s_mov_b32 s34, -1
	s_mov_b32 s33, -1
	s_mov_b32 s31, exec_lo
	v_and_b32_e32 v13, 0x1ff, v13
	v_lshl_add_u32 v15, v13, 2, v19
	ds_read_b32 v20, v15
	s_waitcnt lgkmcnt(0)
	v_cmpx_ne_u32_e64 v20, v9
	s_cbranch_execz .LBB36_20
; %bb.30:                               ;   in Loop: Header=BB36_25 Depth=2
	ds_cmpst_rtn_b32 v15, v15, v11, v9
	s_mov_b32 s35, 0
	s_mov_b32 s33, exec_lo
	s_waitcnt lgkmcnt(0)
	v_cmpx_ne_u32_e32 -1, v15
	s_cbranch_execz .LBB36_19
; %bb.31:                               ;   in Loop: Header=BB36_25 Depth=2
	v_add_nc_u32_e32 v13, 3, v14
	s_mov_b32 s36, -1
	s_mov_b32 s35, -1
	v_and_b32_e32 v13, 0x1ff, v13
	v_lshl_add_u32 v15, v13, 2, v19
	ds_read_b32 v14, v15
	s_waitcnt lgkmcnt(0)
	v_cmp_ne_u32_e32 vcc_lo, v14, v9
                                        ; implicit-def: $vgpr14
	s_and_saveexec_b32 s34, vcc_lo
	s_cbranch_execz .LBB36_18
; %bb.32:                               ;   in Loop: Header=BB36_25 Depth=2
	ds_cmpst_rtn_b32 v14, v15, v11, v9
	s_mov_b32 s35, 0
	s_waitcnt lgkmcnt(0)
	v_cmp_ne_u32_e32 vcc_lo, -1, v14
                                        ; implicit-def: $vgpr14
	s_and_saveexec_b32 s37, vcc_lo
	s_cbranch_execz .LBB36_17
; %bb.33:                               ;   in Loop: Header=BB36_25 Depth=2
	v_add_nc_u32_e32 v12, -4, v12
	v_add_nc_u32_e32 v14, 1, v13
	s_mov_b32 s35, exec_lo
	v_cmp_eq_u32_e32 vcc_lo, 0, v12
	s_orn2_b32 s36, vcc_lo, exec_lo
	s_branch .LBB36_17
.LBB36_34:                              ;   in Loop: Header=BB36_16 Depth=1
	s_or_b32 exec_lo, exec_lo, s7
	s_xor_b32 s7, s18, -1
	s_and_saveexec_b32 s18, s7
	s_xor_b32 s7, exec_lo, s18
	s_cbranch_execz .LBB36_15
; %bb.35:                               ;   in Loop: Header=BB36_16 Depth=1
	v_lshl_add_u32 v9, v13, 2, v0
	ds_write_b32 v9, v8
	s_branch .LBB36_15
.LBB36_36:
	s_or_b32 exec_lo, exec_lo, s0
	s_mov_b32 s6, exec_lo
	s_waitcnt vmcnt(0) lgkmcnt(0)
	buffer_gl0_inv
	v_cmpx_lt_i32_e64 v7, v6
	s_cbranch_execz .LBB36_66
; %bb.37:
	v_add_nc_u32_e32 v20, 1, v16
	s_mov_b32 s7, 0
	s_branch .LBB36_40
.LBB36_38:                              ;   in Loop: Header=BB36_40 Depth=1
	s_or_b32 exec_lo, exec_lo, s18
	v_add_nc_u32_e32 v7, 1, v7
	v_cmp_ge_i32_e32 vcc_lo, v7, v6
	s_orn2_b32 s18, vcc_lo, exec_lo
.LBB36_39:                              ;   in Loop: Header=BB36_40 Depth=1
	s_or_b32 exec_lo, exec_lo, s0
	s_and_b32 s0, exec_lo, s18
	s_or_b32 s7, s0, s7
	s_andn2_b32 exec_lo, exec_lo, s7
	s_cbranch_execz .LBB36_66
.LBB36_40:                              ; =>This Loop Header: Depth=1
                                        ;     Child Loop BB36_41 Depth 2
                                        ;     Child Loop BB36_46 Depth 2
                                        ;       Child Loop BB36_55 Depth 3
	v_ashrrev_i32_e32 v8, 31, v7
	s_mov_b32 s0, 0
	v_lshlrev_b64 v[9:10], 2, v[7:8]
	v_lshlrev_b64 v[12:13], 3, v[7:8]
	v_add_co_u32 v9, vcc_lo, s10, v9
	v_add_co_ci_u32_e64 v10, null, s11, v10, vcc_lo
	v_add_co_u32 v12, vcc_lo, s12, v12
	v_add_co_ci_u32_e64 v13, null, s13, v13, vcc_lo
	global_load_dword v9, v[9:10], off
	s_waitcnt vmcnt(0)
	v_subrev_nc_u32_e32 v9, s2, v9
	v_ashrrev_i32_e32 v10, 31, v9
	v_lshlrev_b64 v[10:11], 2, v[9:10]
	v_add_co_u32 v14, vcc_lo, s8, v10
	v_add_co_ci_u32_e64 v15, null, s9, v11, vcc_lo
	v_add_co_u32 v21, vcc_lo, s14, v10
	v_add_co_ci_u32_e64 v22, null, s15, v11, vcc_lo
	global_load_dwordx2 v[8:9], v[12:13], off
	global_load_dword v14, v[14:15], off offset:4
	global_load_dword v15, v[21:22], off
	v_add_co_u32 v10, vcc_lo, s16, v10
	v_add_co_ci_u32_e64 v11, null, s17, v11, vcc_lo
.LBB36_41:                              ;   Parent Loop BB36_40 Depth=1
                                        ; =>  This Inner Loop Header: Depth=2
	global_load_dword v21, v[10:11], off glc dlc
	s_waitcnt vmcnt(0)
	v_cmp_ne_u32_e32 vcc_lo, 0, v21
	s_or_b32 s0, vcc_lo, s0
	s_andn2_b32 exec_lo, exec_lo, s0
	s_cbranch_execnz .LBB36_41
; %bb.42:                               ;   in Loop: Header=BB36_40 Depth=1
	s_or_b32 exec_lo, exec_lo, s0
	v_subrev_nc_u32_e32 v21, s2, v14
	v_cmp_eq_u32_e32 vcc_lo, -1, v15
	buffer_gl1_inv
	buffer_gl0_inv
	s_mov_b32 s18, -1
	v_add_nc_u32_e32 v10, -1, v21
	v_cndmask_b32_e32 v10, v15, v10, vcc_lo
	v_ashrrev_i32_e32 v11, 31, v10
	v_lshlrev_b64 v[14:15], 3, v[10:11]
	v_add_co_u32 v14, vcc_lo, s12, v14
	v_add_co_ci_u32_e64 v15, null, s13, v15, vcc_lo
	global_load_dwordx2 v[14:15], v[14:15], off
	s_waitcnt vmcnt(0)
	v_cmp_neq_f32_e32 vcc_lo, 0, v14
	v_cmp_neq_f32_e64 s0, 0, v15
	s_or_b32 s19, vcc_lo, s0
	s_and_saveexec_b32 s0, s19
	s_cbranch_execz .LBB36_39
; %bb.43:                               ;   in Loop: Header=BB36_40 Depth=1
	v_mul_f32_e32 v11, v15, v15
	s_mov_b32 s18, exec_lo
	v_fmac_f32_e32 v11, v14, v14
	v_div_scale_f32 v22, null, v11, v11, 1.0
	v_div_scale_f32 v25, vcc_lo, 1.0, v11, 1.0
	v_rcp_f32_e32 v23, v22
	v_fma_f32 v24, -v22, v23, 1.0
	v_fmac_f32_e32 v23, v24, v23
	v_mul_f32_e32 v24, v25, v23
	v_fma_f32 v26, -v22, v24, v25
	v_fmac_f32_e32 v24, v26, v23
	v_fma_f32 v22, -v22, v24, v25
	v_mul_f32_e32 v25, v9, v15
	v_mul_f32_e64 v15, v15, -v8
	v_div_fmas_f32 v22, v22, v23, v24
	v_fmac_f32_e32 v25, v8, v14
	v_fmac_f32_e32 v15, v9, v14
	v_add_nc_u32_e32 v8, v20, v10
	v_div_fixup_f32 v11, v22, v11, 1.0
	v_mul_f32_e32 v10, v25, v11
	v_mul_f32_e32 v11, v15, v11
	global_store_dwordx2 v[12:13], v[10:11], off
	v_cmpx_lt_i32_e64 v8, v21
	s_cbranch_execz .LBB36_38
; %bb.44:                               ;   in Loop: Header=BB36_40 Depth=1
	s_mov_b32 s19, 0
	s_branch .LBB36_46
.LBB36_45:                              ;   in Loop: Header=BB36_46 Depth=2
	s_or_b32 exec_lo, exec_lo, s26
	v_add_nc_u32_e32 v8, 64, v8
	v_cmp_ge_i32_e32 vcc_lo, v8, v21
	s_or_b32 s19, vcc_lo, s19
	s_andn2_b32 exec_lo, exec_lo, s19
	s_cbranch_execz .LBB36_38
.LBB36_46:                              ;   Parent Loop BB36_40 Depth=1
                                        ; =>  This Loop Header: Depth=2
                                        ;       Child Loop BB36_55 Depth 3
	v_ashrrev_i32_e32 v9, 31, v8
	s_mov_b32 s26, 0
                                        ; implicit-def: $sgpr27
                                        ; implicit-def: $sgpr28
                                        ; implicit-def: $sgpr29
	v_lshlrev_b64 v[12:13], 2, v[8:9]
	v_add_co_u32 v12, vcc_lo, s10, v12
	v_add_co_ci_u32_e64 v13, null, s11, v13, vcc_lo
	global_load_dword v12, v[12:13], off
	v_mov_b32_e32 v13, 0x200
	s_waitcnt vmcnt(0)
	v_mul_lo_u32 v15, 0x67, v12
	s_branch .LBB36_55
.LBB36_47:                              ;   in Loop: Header=BB36_55 Depth=3
	s_or_b32 exec_lo, exec_lo, s40
	s_orn2_b32 s38, s38, exec_lo
	s_orn2_b32 s39, s39, exec_lo
.LBB36_48:                              ;   in Loop: Header=BB36_55 Depth=3
	s_or_b32 exec_lo, exec_lo, s37
	s_and_b32 s38, s38, exec_lo
	s_orn2_b32 s37, s39, exec_lo
.LBB36_49:                              ;   in Loop: Header=BB36_55 Depth=3
	s_or_b32 exec_lo, exec_lo, s36
	s_orn2_b32 s36, s38, exec_lo
	s_orn2_b32 s37, s37, exec_lo
.LBB36_50:                              ;   in Loop: Header=BB36_55 Depth=3
	s_or_b32 exec_lo, exec_lo, s35
	s_and_b32 s36, s36, exec_lo
	s_orn2_b32 s35, s37, exec_lo
.LBB36_51:                              ;   in Loop: Header=BB36_55 Depth=3
	s_or_b32 exec_lo, exec_lo, s34
	s_orn2_b32 s34, s36, exec_lo
	s_orn2_b32 s35, s35, exec_lo
.LBB36_52:                              ;   in Loop: Header=BB36_55 Depth=3
	s_or_b32 exec_lo, exec_lo, s33
	s_and_b32 s34, s34, exec_lo
	s_orn2_b32 s33, s35, exec_lo
.LBB36_53:                              ;   in Loop: Header=BB36_55 Depth=3
	s_or_b32 exec_lo, exec_lo, s31
	s_andn2_b32 s29, s29, exec_lo
	s_and_b32 s31, s34, exec_lo
	s_andn2_b32 s28, s28, exec_lo
	s_and_b32 s33, s33, exec_lo
	s_or_b32 s29, s29, s31
	s_or_b32 s28, s28, s33
.LBB36_54:                              ;   in Loop: Header=BB36_55 Depth=3
	s_or_b32 exec_lo, exec_lo, s30
	s_and_b32 s30, exec_lo, s28
	s_or_b32 s26, s30, s26
	s_andn2_b32 s27, s27, exec_lo
	s_and_b32 s30, s29, exec_lo
	s_or_b32 s27, s27, s30
	s_andn2_b32 exec_lo, exec_lo, s26
	s_cbranch_execz .LBB36_64
.LBB36_55:                              ;   Parent Loop BB36_40 Depth=1
                                        ;     Parent Loop BB36_46 Depth=2
                                        ; =>    This Inner Loop Header: Depth=3
	v_and_b32_e32 v14, 0x1ff, v15
	s_or_b32 s29, s29, exec_lo
	s_or_b32 s28, s28, exec_lo
	s_mov_b32 s30, exec_lo
	v_lshl_add_u32 v22, v14, 2, v19
	ds_read_b32 v22, v22
	s_waitcnt lgkmcnt(0)
	v_cmpx_ne_u32_e32 -1, v22
	s_cbranch_execz .LBB36_54
; %bb.56:                               ;   in Loop: Header=BB36_55 Depth=3
	s_mov_b32 s33, -1
	s_mov_b32 s34, 0
	s_mov_b32 s31, exec_lo
	v_cmpx_ne_u32_e64 v22, v12
	s_cbranch_execz .LBB36_53
; %bb.57:                               ;   in Loop: Header=BB36_55 Depth=3
	v_add_nc_u32_e32 v14, 1, v15
	s_mov_b32 s35, -1
	s_mov_b32 s34, -1
	s_mov_b32 s33, exec_lo
	v_and_b32_e32 v14, 0x1ff, v14
	v_lshl_add_u32 v22, v14, 2, v19
	ds_read_b32 v22, v22
	s_waitcnt lgkmcnt(0)
	v_cmpx_ne_u32_e32 -1, v22
	s_cbranch_execz .LBB36_52
; %bb.58:                               ;   in Loop: Header=BB36_55 Depth=3
	s_mov_b32 s36, 0
	s_mov_b32 s34, exec_lo
	v_cmpx_ne_u32_e64 v22, v12
	s_cbranch_execz .LBB36_51
; %bb.59:                               ;   in Loop: Header=BB36_55 Depth=3
	v_add_nc_u32_e32 v14, 2, v15
	s_mov_b32 s37, -1
	s_mov_b32 s36, -1
	s_mov_b32 s35, exec_lo
	v_and_b32_e32 v14, 0x1ff, v14
	v_lshl_add_u32 v22, v14, 2, v19
	ds_read_b32 v22, v22
	s_waitcnt lgkmcnt(0)
	v_cmpx_ne_u32_e32 -1, v22
	s_cbranch_execz .LBB36_50
; %bb.60:                               ;   in Loop: Header=BB36_55 Depth=3
	s_mov_b32 s38, 0
	s_mov_b32 s36, exec_lo
	v_cmpx_ne_u32_e64 v22, v12
	s_cbranch_execz .LBB36_49
; %bb.61:                               ;   in Loop: Header=BB36_55 Depth=3
	v_add_nc_u32_e32 v14, 3, v15
	s_mov_b32 s39, -1
	s_mov_b32 s38, -1
	s_mov_b32 s37, exec_lo
	v_and_b32_e32 v14, 0x1ff, v14
	v_lshl_add_u32 v15, v14, 2, v19
	ds_read_b32 v22, v15
                                        ; implicit-def: $vgpr15
	s_waitcnt lgkmcnt(0)
	v_cmpx_ne_u32_e32 -1, v22
	s_cbranch_execz .LBB36_48
; %bb.62:                               ;   in Loop: Header=BB36_55 Depth=3
	s_mov_b32 s38, 0
	s_mov_b32 s40, exec_lo
                                        ; implicit-def: $vgpr15
	v_cmpx_ne_u32_e64 v22, v12
	s_cbranch_execz .LBB36_47
; %bb.63:                               ;   in Loop: Header=BB36_55 Depth=3
	v_add_nc_u32_e32 v13, -4, v13
	v_add_nc_u32_e32 v15, 1, v14
	s_mov_b32 s38, exec_lo
	v_cmp_eq_u32_e32 vcc_lo, 0, v13
	s_orn2_b32 s39, vcc_lo, exec_lo
	s_branch .LBB36_47
.LBB36_64:                              ;   in Loop: Header=BB36_46 Depth=2
	s_or_b32 exec_lo, exec_lo, s26
	s_xor_b32 s26, s27, -1
	s_and_saveexec_b32 s27, s26
	s_xor_b32 s26, exec_lo, s27
	s_cbranch_execz .LBB36_45
; %bb.65:                               ;   in Loop: Header=BB36_46 Depth=2
	v_lshl_add_u32 v12, v14, 2, v0
	v_lshlrev_b64 v[14:15], 3, v[8:9]
	ds_read_b32 v12, v12
	v_add_co_u32 v14, vcc_lo, s12, v14
	v_add_co_ci_u32_e64 v15, null, s13, v15, vcc_lo
	s_waitcnt lgkmcnt(0)
	v_ashrrev_i32_e32 v13, 31, v12
	v_lshlrev_b64 v[12:13], 3, v[12:13]
	v_add_co_u32 v12, vcc_lo, s12, v12
	v_add_co_ci_u32_e64 v13, null, s13, v13, vcc_lo
	s_clause 0x1
	global_load_dwordx2 v[14:15], v[14:15], off
	global_load_dwordx2 v[22:23], v[12:13], off
	s_waitcnt vmcnt(0)
	v_fma_f32 v22, -v10, v14, v22
	v_fma_f32 v9, -v11, v14, v23
	v_fmac_f32_e32 v22, v11, v15
	v_fma_f32 v23, -v10, v15, v9
	global_store_dwordx2 v[12:13], v[22:23], off
	s_branch .LBB36_45
.LBB36_66:
	s_or_b32 exec_lo, exec_lo, s6
	s_mov_b32 s6, exec_lo
	s_waitcnt_vscnt null, 0x0
	buffer_gl0_inv
	v_cmpx_lt_i32_e32 -1, v6
	s_cbranch_execz .LBB36_88
; %bb.67:
	v_mov_b32_e32 v7, 0
	s_mov_b32 s0, exec_lo
	v_lshlrev_b64 v[8:9], 3, v[6:7]
	v_add_co_u32 v10, vcc_lo, s12, v8
	v_add_co_ci_u32_e64 v11, null, s13, v9, vcc_lo
	global_load_dwordx2 v[8:9], v[10:11], off
	s_waitcnt vmcnt(0)
	v_cmp_gt_f32_e32 vcc_lo, 0, v8
	v_cndmask_b32_e64 v0, v8, -v8, vcc_lo
	v_cmp_gt_f32_e32 vcc_lo, 0, v9
	v_cndmask_b32_e64 v6, v9, -v9, vcc_lo
	v_cmpx_ngt_f32_e32 v0, v6
	s_xor_b32 s7, exec_lo, s0
	s_cbranch_execz .LBB36_71
; %bb.68:
	s_mov_b32 s8, exec_lo
	v_cmpx_neq_f32_e32 0, v9
	s_cbranch_execz .LBB36_70
; %bb.69:
	v_div_scale_f32 v7, null, v6, v6, v0
	v_div_scale_f32 v14, vcc_lo, v0, v6, v0
	v_rcp_f32_e32 v12, v7
	v_fma_f32 v13, -v7, v12, 1.0
	v_fmac_f32_e32 v12, v13, v12
	v_mul_f32_e32 v13, v14, v12
	v_fma_f32 v15, -v7, v13, v14
	v_fmac_f32_e32 v13, v15, v12
	v_fma_f32 v7, -v7, v13, v14
	v_div_fmas_f32 v7, v7, v12, v13
	v_div_fixup_f32 v0, v7, v6, v0
	v_fma_f32 v0, v0, v0, 1.0
	v_mul_f32_e32 v7, 0x4f800000, v0
	v_cmp_gt_f32_e32 vcc_lo, 0xf800000, v0
	v_cndmask_b32_e32 v0, v0, v7, vcc_lo
	v_sqrt_f32_e32 v7, v0
	v_add_nc_u32_e32 v12, -1, v7
	v_add_nc_u32_e32 v13, 1, v7
	v_fma_f32 v14, -v12, v7, v0
	v_fma_f32 v15, -v13, v7, v0
	v_cmp_ge_f32_e64 s0, 0, v14
	v_cndmask_b32_e64 v7, v7, v12, s0
	v_cmp_lt_f32_e64 s0, 0, v15
	v_cndmask_b32_e64 v7, v7, v13, s0
	v_mul_f32_e32 v12, 0x37800000, v7
	v_cndmask_b32_e32 v7, v7, v12, vcc_lo
	v_cmp_class_f32_e64 vcc_lo, v0, 0x260
	v_cndmask_b32_e32 v0, v7, v0, vcc_lo
	v_mul_f32_e32 v7, v6, v0
.LBB36_70:
	s_or_b32 exec_lo, exec_lo, s8
                                        ; implicit-def: $vgpr0
                                        ; implicit-def: $vgpr6
.LBB36_71:
	s_andn2_saveexec_b32 s7, s7
	s_cbranch_execz .LBB36_73
; %bb.72:
	v_div_scale_f32 v7, null, v0, v0, v6
	v_div_scale_f32 v14, vcc_lo, v6, v0, v6
	v_rcp_f32_e32 v12, v7
	v_fma_f32 v13, -v7, v12, 1.0
	v_fmac_f32_e32 v12, v13, v12
	v_mul_f32_e32 v13, v14, v12
	v_fma_f32 v15, -v7, v13, v14
	v_fmac_f32_e32 v13, v15, v12
	v_fma_f32 v7, -v7, v13, v14
	v_div_fmas_f32 v7, v7, v12, v13
	v_div_fixup_f32 v6, v7, v0, v6
	v_fma_f32 v6, v6, v6, 1.0
	v_mul_f32_e32 v7, 0x4f800000, v6
	v_cmp_gt_f32_e32 vcc_lo, 0xf800000, v6
	v_cndmask_b32_e32 v6, v6, v7, vcc_lo
	v_sqrt_f32_e32 v7, v6
	v_add_nc_u32_e32 v12, -1, v7
	v_add_nc_u32_e32 v13, 1, v7
	v_fma_f32 v14, -v12, v7, v6
	v_fma_f32 v15, -v13, v7, v6
	v_cmp_ge_f32_e64 s0, 0, v14
	v_cndmask_b32_e64 v7, v7, v12, s0
	v_cmp_lt_f32_e64 s0, 0, v15
	v_cndmask_b32_e64 v7, v7, v13, s0
	v_mul_f32_e32 v12, 0x37800000, v7
	v_cndmask_b32_e32 v7, v7, v12, vcc_lo
	v_cmp_class_f32_e64 vcc_lo, v6, 0x260
	v_cndmask_b32_e32 v6, v7, v6, vcc_lo
	v_mul_f32_e32 v7, v0, v6
.LBB36_73:
	s_or_b32 exec_lo, exec_lo, s7
	v_cvt_f64_f32_e32 v[6:7], v7
	v_cmp_ne_u32_e32 vcc_lo, 1, v18
	v_cmp_eq_u32_e64 s0, 0, v16
	s_mov_b32 s7, -1
	s_cbranch_vccnz .LBB36_77
; %bb.74:
	v_cvt_f64_f32_e32 v[12:13], v17
	s_cmp_eq_u64 s[24:25], 8
	s_cselect_b32 vcc_lo, -1, 0
	v_cndmask_b32_e32 v4, v13, v4, vcc_lo
	v_cndmask_b32_e32 v3, v12, v3, vcc_lo
	v_cmp_ge_f64_e32 vcc_lo, v[3:4], v[6:7]
	s_and_b32 s8, s0, vcc_lo
	s_and_saveexec_b32 s7, s8
	s_cbranch_execz .LBB36_76
; %bb.75:
	v_mov_b32_e32 v3, s1
	v_mov_b32_e32 v4, s3
	global_store_dwordx2 v[10:11], v[3:4], off
	s_waitcnt_vscnt null, 0x0
	buffer_gl1_inv
	buffer_gl0_inv
.LBB36_76:
	s_or_b32 exec_lo, exec_lo, s7
	s_mov_b32 s7, 0
.LBB36_77:
	s_andn2_b32 vcc_lo, exec_lo, s7
	s_cbranch_vccnz .LBB36_88
; %bb.78:
	s_load_dwordx2 s[4:5], s[4:5], 0x48
	v_add_nc_u32_e32 v0, s2, v5
	s_waitcnt lgkmcnt(0)
	v_cmp_ge_f64_e32 vcc_lo, s[4:5], v[6:7]
	s_and_b32 s2, s0, vcc_lo
	s_and_saveexec_b32 s1, s2
	s_cbranch_execz .LBB36_83
; %bb.79:
	s_mov_b32 s3, exec_lo
	s_brev_b32 s2, -2
.LBB36_80:                              ; =>This Inner Loop Header: Depth=1
	s_ff1_i32_b32 s4, s3
	v_readlane_b32 s5, v0, s4
	s_lshl_b32 s4, 1, s4
	s_andn2_b32 s3, s3, s4
	s_min_i32 s2, s2, s5
	s_cmp_lg_u32 s3, 0
	s_cbranch_scc1 .LBB36_80
; %bb.81:
	v_mbcnt_lo_u32_b32 v3, exec_lo, 0
	s_mov_b32 s3, exec_lo
	v_cmpx_eq_u32_e32 0, v3
	s_xor_b32 s3, exec_lo, s3
	s_cbranch_execz .LBB36_83
; %bb.82:
	v_mov_b32_e32 v3, 0
	v_mov_b32_e32 v4, s2
	global_atomic_smin v3, v4, s[22:23]
.LBB36_83:
	s_or_b32 exec_lo, exec_lo, s1
	v_cmp_eq_f32_e32 vcc_lo, 0, v8
	v_cmp_eq_f32_e64 s1, 0, v9
	s_and_b32 s1, vcc_lo, s1
	s_and_b32 s0, s0, s1
	s_and_b32 exec_lo, exec_lo, s0
	s_cbranch_execz .LBB36_88
; %bb.84:
	s_mov_b32 s1, exec_lo
	s_brev_b32 s0, -2
.LBB36_85:                              ; =>This Inner Loop Header: Depth=1
	s_ff1_i32_b32 s2, s1
	v_readlane_b32 s3, v0, s2
	s_lshl_b32 s2, 1, s2
	s_andn2_b32 s1, s1, s2
	s_min_i32 s0, s0, s3
	s_cmp_lg_u32 s1, 0
	s_cbranch_scc1 .LBB36_85
; %bb.86:
	v_mbcnt_lo_u32_b32 v0, exec_lo, 0
	s_mov_b32 s1, exec_lo
	v_cmpx_eq_u32_e32 0, v0
	s_xor_b32 s1, exec_lo, s1
	s_cbranch_execz .LBB36_88
; %bb.87:
	v_mov_b32_e32 v0, 0
	v_mov_b32_e32 v3, s0
	global_atomic_smin v0, v3, s[20:21]
.LBB36_88:
	s_or_b32 exec_lo, exec_lo, s6
	v_cmp_eq_u32_e32 vcc_lo, 0, v16
	s_waitcnt_vscnt null, 0x0
	buffer_gl1_inv
	buffer_gl0_inv
	s_and_b32 exec_lo, exec_lo, vcc_lo
	s_cbranch_execz .LBB36_90
; %bb.89:
	v_add_co_u32 v0, vcc_lo, s16, v1
	v_add_co_ci_u32_e64 v1, null, s17, v2, vcc_lo
	v_mov_b32_e32 v2, 1
	global_store_dword v[0:1], v2, off
.LBB36_90:
	s_endpgm
	.section	.rodata,"a",@progbits
	.p2align	6, 0x0
	.amdhsa_kernel _ZN9rocsparseL12csrilu0_hashILj256ELj64ELj8E21rocsparse_complex_numIfEEEviPKiS4_PT2_S4_PiS4_S7_S7_d21rocsparse_index_base_imNS_24const_host_device_scalarIfEENS9_IdEENS9_IS5_EEb
		.amdhsa_group_segment_fixed_size 16384
		.amdhsa_private_segment_fixed_size 0
		.amdhsa_kernarg_size 124
		.amdhsa_user_sgpr_count 6
		.amdhsa_user_sgpr_private_segment_buffer 1
		.amdhsa_user_sgpr_dispatch_ptr 0
		.amdhsa_user_sgpr_queue_ptr 0
		.amdhsa_user_sgpr_kernarg_segment_ptr 1
		.amdhsa_user_sgpr_dispatch_id 0
		.amdhsa_user_sgpr_flat_scratch_init 0
		.amdhsa_user_sgpr_private_segment_size 0
		.amdhsa_wavefront_size32 1
		.amdhsa_uses_dynamic_stack 0
		.amdhsa_system_sgpr_private_segment_wavefront_offset 0
		.amdhsa_system_sgpr_workgroup_id_x 1
		.amdhsa_system_sgpr_workgroup_id_y 0
		.amdhsa_system_sgpr_workgroup_id_z 0
		.amdhsa_system_sgpr_workgroup_info 0
		.amdhsa_system_vgpr_workitem_id 0
		.amdhsa_next_free_vgpr 27
		.amdhsa_next_free_sgpr 41
		.amdhsa_reserve_vcc 1
		.amdhsa_reserve_flat_scratch 0
		.amdhsa_float_round_mode_32 0
		.amdhsa_float_round_mode_16_64 0
		.amdhsa_float_denorm_mode_32 3
		.amdhsa_float_denorm_mode_16_64 3
		.amdhsa_dx10_clamp 1
		.amdhsa_ieee_mode 1
		.amdhsa_fp16_overflow 0
		.amdhsa_workgroup_processor_mode 1
		.amdhsa_memory_ordered 1
		.amdhsa_forward_progress 1
		.amdhsa_shared_vgpr_count 0
		.amdhsa_exception_fp_ieee_invalid_op 0
		.amdhsa_exception_fp_denorm_src 0
		.amdhsa_exception_fp_ieee_div_zero 0
		.amdhsa_exception_fp_ieee_overflow 0
		.amdhsa_exception_fp_ieee_underflow 0
		.amdhsa_exception_fp_ieee_inexact 0
		.amdhsa_exception_int_div_zero 0
	.end_amdhsa_kernel
	.section	.text._ZN9rocsparseL12csrilu0_hashILj256ELj64ELj8E21rocsparse_complex_numIfEEEviPKiS4_PT2_S4_PiS4_S7_S7_d21rocsparse_index_base_imNS_24const_host_device_scalarIfEENS9_IdEENS9_IS5_EEb,"axG",@progbits,_ZN9rocsparseL12csrilu0_hashILj256ELj64ELj8E21rocsparse_complex_numIfEEEviPKiS4_PT2_S4_PiS4_S7_S7_d21rocsparse_index_base_imNS_24const_host_device_scalarIfEENS9_IdEENS9_IS5_EEb,comdat
.Lfunc_end36:
	.size	_ZN9rocsparseL12csrilu0_hashILj256ELj64ELj8E21rocsparse_complex_numIfEEEviPKiS4_PT2_S4_PiS4_S7_S7_d21rocsparse_index_base_imNS_24const_host_device_scalarIfEENS9_IdEENS9_IS5_EEb, .Lfunc_end36-_ZN9rocsparseL12csrilu0_hashILj256ELj64ELj8E21rocsparse_complex_numIfEEEviPKiS4_PT2_S4_PiS4_S7_S7_d21rocsparse_index_base_imNS_24const_host_device_scalarIfEENS9_IdEENS9_IS5_EEb
                                        ; -- End function
	.set _ZN9rocsparseL12csrilu0_hashILj256ELj64ELj8E21rocsparse_complex_numIfEEEviPKiS4_PT2_S4_PiS4_S7_S7_d21rocsparse_index_base_imNS_24const_host_device_scalarIfEENS9_IdEENS9_IS5_EEb.num_vgpr, 27
	.set _ZN9rocsparseL12csrilu0_hashILj256ELj64ELj8E21rocsparse_complex_numIfEEEviPKiS4_PT2_S4_PiS4_S7_S7_d21rocsparse_index_base_imNS_24const_host_device_scalarIfEENS9_IdEENS9_IS5_EEb.num_agpr, 0
	.set _ZN9rocsparseL12csrilu0_hashILj256ELj64ELj8E21rocsparse_complex_numIfEEEviPKiS4_PT2_S4_PiS4_S7_S7_d21rocsparse_index_base_imNS_24const_host_device_scalarIfEENS9_IdEENS9_IS5_EEb.numbered_sgpr, 41
	.set _ZN9rocsparseL12csrilu0_hashILj256ELj64ELj8E21rocsparse_complex_numIfEEEviPKiS4_PT2_S4_PiS4_S7_S7_d21rocsparse_index_base_imNS_24const_host_device_scalarIfEENS9_IdEENS9_IS5_EEb.num_named_barrier, 0
	.set _ZN9rocsparseL12csrilu0_hashILj256ELj64ELj8E21rocsparse_complex_numIfEEEviPKiS4_PT2_S4_PiS4_S7_S7_d21rocsparse_index_base_imNS_24const_host_device_scalarIfEENS9_IdEENS9_IS5_EEb.private_seg_size, 0
	.set _ZN9rocsparseL12csrilu0_hashILj256ELj64ELj8E21rocsparse_complex_numIfEEEviPKiS4_PT2_S4_PiS4_S7_S7_d21rocsparse_index_base_imNS_24const_host_device_scalarIfEENS9_IdEENS9_IS5_EEb.uses_vcc, 1
	.set _ZN9rocsparseL12csrilu0_hashILj256ELj64ELj8E21rocsparse_complex_numIfEEEviPKiS4_PT2_S4_PiS4_S7_S7_d21rocsparse_index_base_imNS_24const_host_device_scalarIfEENS9_IdEENS9_IS5_EEb.uses_flat_scratch, 0
	.set _ZN9rocsparseL12csrilu0_hashILj256ELj64ELj8E21rocsparse_complex_numIfEEEviPKiS4_PT2_S4_PiS4_S7_S7_d21rocsparse_index_base_imNS_24const_host_device_scalarIfEENS9_IdEENS9_IS5_EEb.has_dyn_sized_stack, 0
	.set _ZN9rocsparseL12csrilu0_hashILj256ELj64ELj8E21rocsparse_complex_numIfEEEviPKiS4_PT2_S4_PiS4_S7_S7_d21rocsparse_index_base_imNS_24const_host_device_scalarIfEENS9_IdEENS9_IS5_EEb.has_recursion, 0
	.set _ZN9rocsparseL12csrilu0_hashILj256ELj64ELj8E21rocsparse_complex_numIfEEEviPKiS4_PT2_S4_PiS4_S7_S7_d21rocsparse_index_base_imNS_24const_host_device_scalarIfEENS9_IdEENS9_IS5_EEb.has_indirect_call, 0
	.section	.AMDGPU.csdata,"",@progbits
; Kernel info:
; codeLenInByte = 3280
; TotalNumSgprs: 43
; NumVgprs: 27
; ScratchSize: 0
; MemoryBound: 0
; FloatMode: 240
; IeeeMode: 1
; LDSByteSize: 16384 bytes/workgroup (compile time only)
; SGPRBlocks: 0
; VGPRBlocks: 3
; NumSGPRsForWavesPerEU: 43
; NumVGPRsForWavesPerEU: 27
; Occupancy: 16
; WaveLimiterHint : 1
; COMPUTE_PGM_RSRC2:SCRATCH_EN: 0
; COMPUTE_PGM_RSRC2:USER_SGPR: 6
; COMPUTE_PGM_RSRC2:TRAP_HANDLER: 0
; COMPUTE_PGM_RSRC2:TGID_X_EN: 1
; COMPUTE_PGM_RSRC2:TGID_Y_EN: 0
; COMPUTE_PGM_RSRC2:TGID_Z_EN: 0
; COMPUTE_PGM_RSRC2:TIDIG_COMP_CNT: 0
	.section	.text._ZN9rocsparseL12csrilu0_hashILj256ELj64ELj16E21rocsparse_complex_numIfEEEviPKiS4_PT2_S4_PiS4_S7_S7_d21rocsparse_index_base_imNS_24const_host_device_scalarIfEENS9_IdEENS9_IS5_EEb,"axG",@progbits,_ZN9rocsparseL12csrilu0_hashILj256ELj64ELj16E21rocsparse_complex_numIfEEEviPKiS4_PT2_S4_PiS4_S7_S7_d21rocsparse_index_base_imNS_24const_host_device_scalarIfEENS9_IdEENS9_IS5_EEb,comdat
	.globl	_ZN9rocsparseL12csrilu0_hashILj256ELj64ELj16E21rocsparse_complex_numIfEEEviPKiS4_PT2_S4_PiS4_S7_S7_d21rocsparse_index_base_imNS_24const_host_device_scalarIfEENS9_IdEENS9_IS5_EEb ; -- Begin function _ZN9rocsparseL12csrilu0_hashILj256ELj64ELj16E21rocsparse_complex_numIfEEEviPKiS4_PT2_S4_PiS4_S7_S7_d21rocsparse_index_base_imNS_24const_host_device_scalarIfEENS9_IdEENS9_IS5_EEb
	.p2align	8
	.type	_ZN9rocsparseL12csrilu0_hashILj256ELj64ELj16E21rocsparse_complex_numIfEEEviPKiS4_PT2_S4_PiS4_S7_S7_d21rocsparse_index_base_imNS_24const_host_device_scalarIfEENS9_IdEENS9_IS5_EEb,@function
_ZN9rocsparseL12csrilu0_hashILj256ELj64ELj16E21rocsparse_complex_numIfEEEviPKiS4_PT2_S4_PiS4_S7_S7_d21rocsparse_index_base_imNS_24const_host_device_scalarIfEENS9_IdEENS9_IS5_EEb: ; @_ZN9rocsparseL12csrilu0_hashILj256ELj64ELj16E21rocsparse_complex_numIfEEEviPKiS4_PT2_S4_PiS4_S7_S7_d21rocsparse_index_base_imNS_24const_host_device_scalarIfEENS9_IdEENS9_IS5_EEb
; %bb.0:
	s_clause 0x2
	s_load_dword s0, s[4:5], 0x78
	s_load_dwordx2 s[2:3], s[4:5], 0x50
	s_load_dwordx8 s[24:31], s[4:5], 0x58
	s_waitcnt lgkmcnt(0)
	s_bitcmp1_b32 s0, 0
	s_cselect_b32 s7, -1, 0
	s_cmp_eq_u32 s3, 0
	s_cselect_b32 s9, -1, 0
	s_cmp_lg_u32 s3, 0
	s_cselect_b32 s3, -1, 0
	s_or_b32 s10, s9, s7
	s_xor_b32 s8, s10, -1
	s_and_b32 s0, s9, exec_lo
	s_cselect_b32 s1, 0, s29
	s_cselect_b32 s0, 0, s28
	s_and_b32 vcc_lo, exec_lo, s10
	s_cbranch_vccnz .LBB37_2
; %bb.1:
	s_load_dword s0, s[26:27], 0x0
	s_waitcnt lgkmcnt(0)
	v_mov_b32_e32 v17, s0
	s_mov_b64 s[0:1], s[28:29]
	v_mov_b32_e32 v4, s1
	v_mov_b32_e32 v3, s0
	s_andn2_b32 vcc_lo, exec_lo, s8
	s_cbranch_vccz .LBB37_3
	s_branch .LBB37_4
.LBB37_2:
	v_cndmask_b32_e64 v17, s26, 0, s9
	v_mov_b32_e32 v4, s1
	v_mov_b32_e32 v3, s0
	s_andn2_b32 vcc_lo, exec_lo, s8
	s_cbranch_vccnz .LBB37_4
.LBB37_3:
	v_mov_b32_e32 v1, s28
	v_mov_b32_e32 v2, s29
	flat_load_dwordx2 v[3:4], v[1:2]
.LBB37_4:
	v_cndmask_b32_e64 v18, 0, 1, s3
	s_mov_b32 s1, 0
	s_andn2_b32 vcc_lo, exec_lo, s3
	s_mov_b32 s3, 0
	s_cbranch_vccnz .LBB37_10
; %bb.5:
	s_xor_b32 s0, s7, -1
	s_mov_b32 s1, s30
	v_cndmask_b32_e64 v1, 0, 1, s0
	s_andn2_b32 vcc_lo, exec_lo, s0
	s_cbranch_vccnz .LBB37_7
; %bb.6:
	s_load_dword s1, s[30:31], 0x0
.LBB37_7:
	v_cmp_ne_u32_e32 vcc_lo, 1, v1
	s_cbranch_vccnz .LBB37_9
; %bb.8:
	s_load_dword s31, s[30:31], 0x4
.LBB37_9:
	s_waitcnt lgkmcnt(0)
	s_mov_b32 s3, s31
.LBB37_10:
	v_lshrrev_b32_e32 v1, 6, v0
	v_and_b32_e32 v16, 63, v0
	s_mov_b32 s0, 0
	v_lshlrev_b32_e32 v5, 12, v1
	v_lshlrev_b32_e32 v6, 2, v16
	v_or_b32_e32 v2, 0xffffffc0, v16
	v_or3_b32 v5, v5, v6, 0x4000
	v_mov_b32_e32 v6, -1
.LBB37_11:                              ; =>This Inner Loop Header: Depth=1
	v_add_nc_u32_e32 v2, 64, v2
	ds_write_b32 v5, v6
	v_add_nc_u32_e32 v5, 0x100, v5
	v_cmp_lt_u32_e32 vcc_lo, 0x3bf, v2
	s_or_b32 s0, vcc_lo, s0
	s_andn2_b32 exec_lo, exec_lo, s0
	s_cbranch_execnz .LBB37_11
; %bb.12:
	s_or_b32 exec_lo, exec_lo, s0
	s_load_dword s0, s[4:5], 0x0
	s_lshl_b32 s6, s6, 2
	s_waitcnt vmcnt(0) lgkmcnt(0)
	buffer_gl0_inv
	v_and_or_b32 v1, 0x3fffffc, s6, v1
	v_cmp_gt_i32_e32 vcc_lo, s0, v1
	s_and_saveexec_b32 s0, vcc_lo
	s_cbranch_execz .LBB37_90
; %bb.13:
	s_load_dwordx16 s[8:23], s[4:5], 0x8
	v_lshlrev_b32_e32 v1, 2, v1
	v_lshlrev_b32_e32 v0, 6, v0
	s_mov_b32 s0, exec_lo
	v_and_b32_e32 v0, 0x3000, v0
	v_or_b32_e32 v19, 0x4000, v0
	s_waitcnt lgkmcnt(0)
	global_load_dword v5, v1, s[18:19]
	s_waitcnt vmcnt(0)
	v_ashrrev_i32_e32 v6, 31, v5
	v_lshlrev_b64 v[1:2], 2, v[5:6]
	v_add_co_u32 v6, vcc_lo, s8, v1
	v_add_co_ci_u32_e64 v7, null, s9, v2, vcc_lo
	v_add_co_u32 v9, vcc_lo, s14, v1
	v_add_co_ci_u32_e64 v10, null, s15, v2, vcc_lo
	global_load_dwordx2 v[7:8], v[6:7], off
	global_load_dword v6, v[9:10], off
	s_waitcnt vmcnt(1)
	v_subrev_nc_u32_e32 v7, s2, v7
	v_subrev_nc_u32_e32 v10, s2, v8
	v_add_nc_u32_e32 v8, v7, v16
	v_cmpx_lt_i32_e64 v8, v10
	s_cbranch_execz .LBB37_36
; %bb.14:
	v_mov_b32_e32 v11, -1
	s_mov_b32 s6, 0
	s_branch .LBB37_16
.LBB37_15:                              ;   in Loop: Header=BB37_16 Depth=1
	s_or_b32 exec_lo, exec_lo, s7
	v_add_nc_u32_e32 v8, 64, v8
	v_cmp_ge_i32_e32 vcc_lo, v8, v10
	s_or_b32 s6, vcc_lo, s6
	s_andn2_b32 exec_lo, exec_lo, s6
	s_cbranch_execz .LBB37_36
.LBB37_16:                              ; =>This Loop Header: Depth=1
                                        ;     Child Loop BB37_25 Depth 2
	v_ashrrev_i32_e32 v9, 31, v8
	s_mov_b32 s7, 0
                                        ; implicit-def: $sgpr18
                                        ; implicit-def: $sgpr19
                                        ; implicit-def: $sgpr26
	v_lshlrev_b64 v[12:13], 2, v[8:9]
	v_add_co_u32 v12, vcc_lo, s10, v12
	v_add_co_ci_u32_e64 v13, null, s11, v13, vcc_lo
	global_load_dword v9, v[12:13], off
	v_mov_b32_e32 v12, 0x400
	s_waitcnt vmcnt(0)
	v_mul_lo_u32 v14, 0x67, v9
	s_branch .LBB37_25
.LBB37_17:                              ;   in Loop: Header=BB37_25 Depth=2
	s_or_b32 exec_lo, exec_lo, s37
	s_orn2_b32 s35, s35, exec_lo
	s_orn2_b32 s36, s36, exec_lo
.LBB37_18:                              ;   in Loop: Header=BB37_25 Depth=2
	s_or_b32 exec_lo, exec_lo, s34
	s_and_b32 s35, s35, exec_lo
	s_orn2_b32 s34, s36, exec_lo
.LBB37_19:                              ;   in Loop: Header=BB37_25 Depth=2
	s_or_b32 exec_lo, exec_lo, s33
	s_orn2_b32 s33, s35, exec_lo
	s_orn2_b32 s34, s34, exec_lo
.LBB37_20:                              ;   in Loop: Header=BB37_25 Depth=2
	s_or_b32 exec_lo, exec_lo, s31
	s_and_b32 s33, s33, exec_lo
	s_orn2_b32 s31, s34, exec_lo
.LBB37_21:                              ;   in Loop: Header=BB37_25 Depth=2
	s_or_b32 exec_lo, exec_lo, s30
	s_orn2_b32 s30, s33, exec_lo
	s_orn2_b32 s31, s31, exec_lo
.LBB37_22:                              ;   in Loop: Header=BB37_25 Depth=2
	s_or_b32 exec_lo, exec_lo, s29
	s_and_b32 s30, s30, exec_lo
	s_orn2_b32 s29, s31, exec_lo
.LBB37_23:                              ;   in Loop: Header=BB37_25 Depth=2
	s_or_b32 exec_lo, exec_lo, s28
	s_andn2_b32 s26, s26, exec_lo
	s_and_b32 s28, s30, exec_lo
	s_andn2_b32 s19, s19, exec_lo
	s_and_b32 s29, s29, exec_lo
	s_or_b32 s26, s26, s28
	s_or_b32 s19, s19, s29
.LBB37_24:                              ;   in Loop: Header=BB37_25 Depth=2
	s_or_b32 exec_lo, exec_lo, s27
	s_and_b32 s27, exec_lo, s19
	s_or_b32 s7, s27, s7
	s_andn2_b32 s18, s18, exec_lo
	s_and_b32 s27, s26, exec_lo
	s_or_b32 s18, s18, s27
	s_andn2_b32 exec_lo, exec_lo, s7
	s_cbranch_execz .LBB37_34
.LBB37_25:                              ;   Parent Loop BB37_16 Depth=1
                                        ; =>  This Inner Loop Header: Depth=2
	v_and_b32_e32 v13, 0x3ff, v14
	s_or_b32 s26, s26, exec_lo
	s_or_b32 s19, s19, exec_lo
	s_mov_b32 s27, exec_lo
	v_lshl_add_u32 v15, v13, 2, v19
	ds_read_b32 v20, v15
	s_waitcnt lgkmcnt(0)
	v_cmpx_ne_u32_e64 v20, v9
	s_cbranch_execz .LBB37_24
; %bb.26:                               ;   in Loop: Header=BB37_25 Depth=2
	ds_cmpst_rtn_b32 v15, v15, v11, v9
	s_mov_b32 s29, -1
	s_mov_b32 s30, 0
	s_mov_b32 s28, exec_lo
	s_waitcnt lgkmcnt(0)
	v_cmpx_ne_u32_e32 -1, v15
	s_cbranch_execz .LBB37_23
; %bb.27:                               ;   in Loop: Header=BB37_25 Depth=2
	v_add_nc_u32_e32 v13, 1, v14
	s_mov_b32 s31, -1
	s_mov_b32 s30, -1
	s_mov_b32 s29, exec_lo
	v_and_b32_e32 v13, 0x3ff, v13
	v_lshl_add_u32 v15, v13, 2, v19
	ds_read_b32 v20, v15
	s_waitcnt lgkmcnt(0)
	v_cmpx_ne_u32_e64 v20, v9
	s_cbranch_execz .LBB37_22
; %bb.28:                               ;   in Loop: Header=BB37_25 Depth=2
	ds_cmpst_rtn_b32 v15, v15, v11, v9
	s_mov_b32 s33, 0
	s_mov_b32 s30, exec_lo
	s_waitcnt lgkmcnt(0)
	v_cmpx_ne_u32_e32 -1, v15
	s_cbranch_execz .LBB37_21
; %bb.29:                               ;   in Loop: Header=BB37_25 Depth=2
	v_add_nc_u32_e32 v13, 2, v14
	s_mov_b32 s34, -1
	s_mov_b32 s33, -1
	s_mov_b32 s31, exec_lo
	v_and_b32_e32 v13, 0x3ff, v13
	v_lshl_add_u32 v15, v13, 2, v19
	ds_read_b32 v20, v15
	s_waitcnt lgkmcnt(0)
	v_cmpx_ne_u32_e64 v20, v9
	s_cbranch_execz .LBB37_20
; %bb.30:                               ;   in Loop: Header=BB37_25 Depth=2
	ds_cmpst_rtn_b32 v15, v15, v11, v9
	s_mov_b32 s35, 0
	s_mov_b32 s33, exec_lo
	s_waitcnt lgkmcnt(0)
	v_cmpx_ne_u32_e32 -1, v15
	s_cbranch_execz .LBB37_19
; %bb.31:                               ;   in Loop: Header=BB37_25 Depth=2
	v_add_nc_u32_e32 v13, 3, v14
	s_mov_b32 s36, -1
	s_mov_b32 s35, -1
	v_and_b32_e32 v13, 0x3ff, v13
	v_lshl_add_u32 v15, v13, 2, v19
	ds_read_b32 v14, v15
	s_waitcnt lgkmcnt(0)
	v_cmp_ne_u32_e32 vcc_lo, v14, v9
                                        ; implicit-def: $vgpr14
	s_and_saveexec_b32 s34, vcc_lo
	s_cbranch_execz .LBB37_18
; %bb.32:                               ;   in Loop: Header=BB37_25 Depth=2
	ds_cmpst_rtn_b32 v14, v15, v11, v9
	s_mov_b32 s35, 0
	s_waitcnt lgkmcnt(0)
	v_cmp_ne_u32_e32 vcc_lo, -1, v14
                                        ; implicit-def: $vgpr14
	s_and_saveexec_b32 s37, vcc_lo
	s_cbranch_execz .LBB37_17
; %bb.33:                               ;   in Loop: Header=BB37_25 Depth=2
	v_add_nc_u32_e32 v12, -4, v12
	v_add_nc_u32_e32 v14, 1, v13
	s_mov_b32 s35, exec_lo
	v_cmp_eq_u32_e32 vcc_lo, 0, v12
	s_orn2_b32 s36, vcc_lo, exec_lo
	s_branch .LBB37_17
.LBB37_34:                              ;   in Loop: Header=BB37_16 Depth=1
	s_or_b32 exec_lo, exec_lo, s7
	s_xor_b32 s7, s18, -1
	s_and_saveexec_b32 s18, s7
	s_xor_b32 s7, exec_lo, s18
	s_cbranch_execz .LBB37_15
; %bb.35:                               ;   in Loop: Header=BB37_16 Depth=1
	v_lshl_add_u32 v9, v13, 2, v0
	ds_write_b32 v9, v8
	s_branch .LBB37_15
.LBB37_36:
	s_or_b32 exec_lo, exec_lo, s0
	s_mov_b32 s6, exec_lo
	s_waitcnt vmcnt(0) lgkmcnt(0)
	buffer_gl0_inv
	v_cmpx_lt_i32_e64 v7, v6
	s_cbranch_execz .LBB37_66
; %bb.37:
	v_add_nc_u32_e32 v20, 1, v16
	s_mov_b32 s7, 0
	s_branch .LBB37_40
.LBB37_38:                              ;   in Loop: Header=BB37_40 Depth=1
	s_or_b32 exec_lo, exec_lo, s18
	v_add_nc_u32_e32 v7, 1, v7
	v_cmp_ge_i32_e32 vcc_lo, v7, v6
	s_orn2_b32 s18, vcc_lo, exec_lo
.LBB37_39:                              ;   in Loop: Header=BB37_40 Depth=1
	s_or_b32 exec_lo, exec_lo, s0
	s_and_b32 s0, exec_lo, s18
	s_or_b32 s7, s0, s7
	s_andn2_b32 exec_lo, exec_lo, s7
	s_cbranch_execz .LBB37_66
.LBB37_40:                              ; =>This Loop Header: Depth=1
                                        ;     Child Loop BB37_41 Depth 2
                                        ;     Child Loop BB37_46 Depth 2
                                        ;       Child Loop BB37_55 Depth 3
	v_ashrrev_i32_e32 v8, 31, v7
	s_mov_b32 s0, 0
	v_lshlrev_b64 v[9:10], 2, v[7:8]
	v_lshlrev_b64 v[12:13], 3, v[7:8]
	v_add_co_u32 v9, vcc_lo, s10, v9
	v_add_co_ci_u32_e64 v10, null, s11, v10, vcc_lo
	v_add_co_u32 v12, vcc_lo, s12, v12
	v_add_co_ci_u32_e64 v13, null, s13, v13, vcc_lo
	global_load_dword v9, v[9:10], off
	s_waitcnt vmcnt(0)
	v_subrev_nc_u32_e32 v9, s2, v9
	v_ashrrev_i32_e32 v10, 31, v9
	v_lshlrev_b64 v[10:11], 2, v[9:10]
	v_add_co_u32 v14, vcc_lo, s8, v10
	v_add_co_ci_u32_e64 v15, null, s9, v11, vcc_lo
	v_add_co_u32 v21, vcc_lo, s14, v10
	v_add_co_ci_u32_e64 v22, null, s15, v11, vcc_lo
	global_load_dwordx2 v[8:9], v[12:13], off
	global_load_dword v14, v[14:15], off offset:4
	global_load_dword v15, v[21:22], off
	v_add_co_u32 v10, vcc_lo, s16, v10
	v_add_co_ci_u32_e64 v11, null, s17, v11, vcc_lo
.LBB37_41:                              ;   Parent Loop BB37_40 Depth=1
                                        ; =>  This Inner Loop Header: Depth=2
	global_load_dword v21, v[10:11], off glc dlc
	s_waitcnt vmcnt(0)
	v_cmp_ne_u32_e32 vcc_lo, 0, v21
	s_or_b32 s0, vcc_lo, s0
	s_andn2_b32 exec_lo, exec_lo, s0
	s_cbranch_execnz .LBB37_41
; %bb.42:                               ;   in Loop: Header=BB37_40 Depth=1
	s_or_b32 exec_lo, exec_lo, s0
	v_subrev_nc_u32_e32 v21, s2, v14
	v_cmp_eq_u32_e32 vcc_lo, -1, v15
	buffer_gl1_inv
	buffer_gl0_inv
	s_mov_b32 s18, -1
	v_add_nc_u32_e32 v10, -1, v21
	v_cndmask_b32_e32 v10, v15, v10, vcc_lo
	v_ashrrev_i32_e32 v11, 31, v10
	v_lshlrev_b64 v[14:15], 3, v[10:11]
	v_add_co_u32 v14, vcc_lo, s12, v14
	v_add_co_ci_u32_e64 v15, null, s13, v15, vcc_lo
	global_load_dwordx2 v[14:15], v[14:15], off
	s_waitcnt vmcnt(0)
	v_cmp_neq_f32_e32 vcc_lo, 0, v14
	v_cmp_neq_f32_e64 s0, 0, v15
	s_or_b32 s19, vcc_lo, s0
	s_and_saveexec_b32 s0, s19
	s_cbranch_execz .LBB37_39
; %bb.43:                               ;   in Loop: Header=BB37_40 Depth=1
	v_mul_f32_e32 v11, v15, v15
	s_mov_b32 s18, exec_lo
	v_fmac_f32_e32 v11, v14, v14
	v_div_scale_f32 v22, null, v11, v11, 1.0
	v_div_scale_f32 v25, vcc_lo, 1.0, v11, 1.0
	v_rcp_f32_e32 v23, v22
	v_fma_f32 v24, -v22, v23, 1.0
	v_fmac_f32_e32 v23, v24, v23
	v_mul_f32_e32 v24, v25, v23
	v_fma_f32 v26, -v22, v24, v25
	v_fmac_f32_e32 v24, v26, v23
	v_fma_f32 v22, -v22, v24, v25
	v_mul_f32_e32 v25, v9, v15
	v_mul_f32_e64 v15, v15, -v8
	v_div_fmas_f32 v22, v22, v23, v24
	v_fmac_f32_e32 v25, v8, v14
	v_fmac_f32_e32 v15, v9, v14
	v_add_nc_u32_e32 v8, v20, v10
	v_div_fixup_f32 v11, v22, v11, 1.0
	v_mul_f32_e32 v10, v25, v11
	v_mul_f32_e32 v11, v15, v11
	global_store_dwordx2 v[12:13], v[10:11], off
	v_cmpx_lt_i32_e64 v8, v21
	s_cbranch_execz .LBB37_38
; %bb.44:                               ;   in Loop: Header=BB37_40 Depth=1
	s_mov_b32 s19, 0
	s_branch .LBB37_46
.LBB37_45:                              ;   in Loop: Header=BB37_46 Depth=2
	s_or_b32 exec_lo, exec_lo, s26
	v_add_nc_u32_e32 v8, 64, v8
	v_cmp_ge_i32_e32 vcc_lo, v8, v21
	s_or_b32 s19, vcc_lo, s19
	s_andn2_b32 exec_lo, exec_lo, s19
	s_cbranch_execz .LBB37_38
.LBB37_46:                              ;   Parent Loop BB37_40 Depth=1
                                        ; =>  This Loop Header: Depth=2
                                        ;       Child Loop BB37_55 Depth 3
	v_ashrrev_i32_e32 v9, 31, v8
	s_mov_b32 s26, 0
                                        ; implicit-def: $sgpr27
                                        ; implicit-def: $sgpr28
                                        ; implicit-def: $sgpr29
	v_lshlrev_b64 v[12:13], 2, v[8:9]
	v_add_co_u32 v12, vcc_lo, s10, v12
	v_add_co_ci_u32_e64 v13, null, s11, v13, vcc_lo
	global_load_dword v12, v[12:13], off
	v_mov_b32_e32 v13, 0x400
	s_waitcnt vmcnt(0)
	v_mul_lo_u32 v15, 0x67, v12
	s_branch .LBB37_55
.LBB37_47:                              ;   in Loop: Header=BB37_55 Depth=3
	s_or_b32 exec_lo, exec_lo, s40
	s_orn2_b32 s38, s38, exec_lo
	s_orn2_b32 s39, s39, exec_lo
.LBB37_48:                              ;   in Loop: Header=BB37_55 Depth=3
	s_or_b32 exec_lo, exec_lo, s37
	s_and_b32 s38, s38, exec_lo
	s_orn2_b32 s37, s39, exec_lo
.LBB37_49:                              ;   in Loop: Header=BB37_55 Depth=3
	s_or_b32 exec_lo, exec_lo, s36
	s_orn2_b32 s36, s38, exec_lo
	s_orn2_b32 s37, s37, exec_lo
.LBB37_50:                              ;   in Loop: Header=BB37_55 Depth=3
	s_or_b32 exec_lo, exec_lo, s35
	s_and_b32 s36, s36, exec_lo
	s_orn2_b32 s35, s37, exec_lo
.LBB37_51:                              ;   in Loop: Header=BB37_55 Depth=3
	s_or_b32 exec_lo, exec_lo, s34
	s_orn2_b32 s34, s36, exec_lo
	s_orn2_b32 s35, s35, exec_lo
.LBB37_52:                              ;   in Loop: Header=BB37_55 Depth=3
	s_or_b32 exec_lo, exec_lo, s33
	s_and_b32 s34, s34, exec_lo
	s_orn2_b32 s33, s35, exec_lo
.LBB37_53:                              ;   in Loop: Header=BB37_55 Depth=3
	s_or_b32 exec_lo, exec_lo, s31
	s_andn2_b32 s29, s29, exec_lo
	s_and_b32 s31, s34, exec_lo
	s_andn2_b32 s28, s28, exec_lo
	s_and_b32 s33, s33, exec_lo
	s_or_b32 s29, s29, s31
	s_or_b32 s28, s28, s33
.LBB37_54:                              ;   in Loop: Header=BB37_55 Depth=3
	s_or_b32 exec_lo, exec_lo, s30
	s_and_b32 s30, exec_lo, s28
	s_or_b32 s26, s30, s26
	s_andn2_b32 s27, s27, exec_lo
	s_and_b32 s30, s29, exec_lo
	s_or_b32 s27, s27, s30
	s_andn2_b32 exec_lo, exec_lo, s26
	s_cbranch_execz .LBB37_64
.LBB37_55:                              ;   Parent Loop BB37_40 Depth=1
                                        ;     Parent Loop BB37_46 Depth=2
                                        ; =>    This Inner Loop Header: Depth=3
	v_and_b32_e32 v14, 0x3ff, v15
	s_or_b32 s29, s29, exec_lo
	s_or_b32 s28, s28, exec_lo
	s_mov_b32 s30, exec_lo
	v_lshl_add_u32 v22, v14, 2, v19
	ds_read_b32 v22, v22
	s_waitcnt lgkmcnt(0)
	v_cmpx_ne_u32_e32 -1, v22
	s_cbranch_execz .LBB37_54
; %bb.56:                               ;   in Loop: Header=BB37_55 Depth=3
	s_mov_b32 s33, -1
	s_mov_b32 s34, 0
	s_mov_b32 s31, exec_lo
	v_cmpx_ne_u32_e64 v22, v12
	s_cbranch_execz .LBB37_53
; %bb.57:                               ;   in Loop: Header=BB37_55 Depth=3
	v_add_nc_u32_e32 v14, 1, v15
	s_mov_b32 s35, -1
	s_mov_b32 s34, -1
	s_mov_b32 s33, exec_lo
	v_and_b32_e32 v14, 0x3ff, v14
	v_lshl_add_u32 v22, v14, 2, v19
	ds_read_b32 v22, v22
	s_waitcnt lgkmcnt(0)
	v_cmpx_ne_u32_e32 -1, v22
	s_cbranch_execz .LBB37_52
; %bb.58:                               ;   in Loop: Header=BB37_55 Depth=3
	s_mov_b32 s36, 0
	s_mov_b32 s34, exec_lo
	v_cmpx_ne_u32_e64 v22, v12
	s_cbranch_execz .LBB37_51
; %bb.59:                               ;   in Loop: Header=BB37_55 Depth=3
	v_add_nc_u32_e32 v14, 2, v15
	s_mov_b32 s37, -1
	s_mov_b32 s36, -1
	s_mov_b32 s35, exec_lo
	v_and_b32_e32 v14, 0x3ff, v14
	v_lshl_add_u32 v22, v14, 2, v19
	ds_read_b32 v22, v22
	s_waitcnt lgkmcnt(0)
	v_cmpx_ne_u32_e32 -1, v22
	s_cbranch_execz .LBB37_50
; %bb.60:                               ;   in Loop: Header=BB37_55 Depth=3
	s_mov_b32 s38, 0
	s_mov_b32 s36, exec_lo
	v_cmpx_ne_u32_e64 v22, v12
	s_cbranch_execz .LBB37_49
; %bb.61:                               ;   in Loop: Header=BB37_55 Depth=3
	v_add_nc_u32_e32 v14, 3, v15
	s_mov_b32 s39, -1
	s_mov_b32 s38, -1
	s_mov_b32 s37, exec_lo
	v_and_b32_e32 v14, 0x3ff, v14
	v_lshl_add_u32 v15, v14, 2, v19
	ds_read_b32 v22, v15
                                        ; implicit-def: $vgpr15
	s_waitcnt lgkmcnt(0)
	v_cmpx_ne_u32_e32 -1, v22
	s_cbranch_execz .LBB37_48
; %bb.62:                               ;   in Loop: Header=BB37_55 Depth=3
	s_mov_b32 s38, 0
	s_mov_b32 s40, exec_lo
                                        ; implicit-def: $vgpr15
	v_cmpx_ne_u32_e64 v22, v12
	s_cbranch_execz .LBB37_47
; %bb.63:                               ;   in Loop: Header=BB37_55 Depth=3
	v_add_nc_u32_e32 v13, -4, v13
	v_add_nc_u32_e32 v15, 1, v14
	s_mov_b32 s38, exec_lo
	v_cmp_eq_u32_e32 vcc_lo, 0, v13
	s_orn2_b32 s39, vcc_lo, exec_lo
	s_branch .LBB37_47
.LBB37_64:                              ;   in Loop: Header=BB37_46 Depth=2
	s_or_b32 exec_lo, exec_lo, s26
	s_xor_b32 s26, s27, -1
	s_and_saveexec_b32 s27, s26
	s_xor_b32 s26, exec_lo, s27
	s_cbranch_execz .LBB37_45
; %bb.65:                               ;   in Loop: Header=BB37_46 Depth=2
	v_lshl_add_u32 v12, v14, 2, v0
	v_lshlrev_b64 v[14:15], 3, v[8:9]
	ds_read_b32 v12, v12
	v_add_co_u32 v14, vcc_lo, s12, v14
	v_add_co_ci_u32_e64 v15, null, s13, v15, vcc_lo
	s_waitcnt lgkmcnt(0)
	v_ashrrev_i32_e32 v13, 31, v12
	v_lshlrev_b64 v[12:13], 3, v[12:13]
	v_add_co_u32 v12, vcc_lo, s12, v12
	v_add_co_ci_u32_e64 v13, null, s13, v13, vcc_lo
	s_clause 0x1
	global_load_dwordx2 v[14:15], v[14:15], off
	global_load_dwordx2 v[22:23], v[12:13], off
	s_waitcnt vmcnt(0)
	v_fma_f32 v22, -v10, v14, v22
	v_fma_f32 v9, -v11, v14, v23
	v_fmac_f32_e32 v22, v11, v15
	v_fma_f32 v23, -v10, v15, v9
	global_store_dwordx2 v[12:13], v[22:23], off
	s_branch .LBB37_45
.LBB37_66:
	s_or_b32 exec_lo, exec_lo, s6
	s_mov_b32 s6, exec_lo
	s_waitcnt_vscnt null, 0x0
	buffer_gl0_inv
	v_cmpx_lt_i32_e32 -1, v6
	s_cbranch_execz .LBB37_88
; %bb.67:
	v_mov_b32_e32 v7, 0
	s_mov_b32 s0, exec_lo
	v_lshlrev_b64 v[8:9], 3, v[6:7]
	v_add_co_u32 v10, vcc_lo, s12, v8
	v_add_co_ci_u32_e64 v11, null, s13, v9, vcc_lo
	global_load_dwordx2 v[8:9], v[10:11], off
	s_waitcnt vmcnt(0)
	v_cmp_gt_f32_e32 vcc_lo, 0, v8
	v_cndmask_b32_e64 v0, v8, -v8, vcc_lo
	v_cmp_gt_f32_e32 vcc_lo, 0, v9
	v_cndmask_b32_e64 v6, v9, -v9, vcc_lo
	v_cmpx_ngt_f32_e32 v0, v6
	s_xor_b32 s7, exec_lo, s0
	s_cbranch_execz .LBB37_71
; %bb.68:
	s_mov_b32 s8, exec_lo
	v_cmpx_neq_f32_e32 0, v9
	s_cbranch_execz .LBB37_70
; %bb.69:
	v_div_scale_f32 v7, null, v6, v6, v0
	v_div_scale_f32 v14, vcc_lo, v0, v6, v0
	v_rcp_f32_e32 v12, v7
	v_fma_f32 v13, -v7, v12, 1.0
	v_fmac_f32_e32 v12, v13, v12
	v_mul_f32_e32 v13, v14, v12
	v_fma_f32 v15, -v7, v13, v14
	v_fmac_f32_e32 v13, v15, v12
	v_fma_f32 v7, -v7, v13, v14
	v_div_fmas_f32 v7, v7, v12, v13
	v_div_fixup_f32 v0, v7, v6, v0
	v_fma_f32 v0, v0, v0, 1.0
	v_mul_f32_e32 v7, 0x4f800000, v0
	v_cmp_gt_f32_e32 vcc_lo, 0xf800000, v0
	v_cndmask_b32_e32 v0, v0, v7, vcc_lo
	v_sqrt_f32_e32 v7, v0
	v_add_nc_u32_e32 v12, -1, v7
	v_add_nc_u32_e32 v13, 1, v7
	v_fma_f32 v14, -v12, v7, v0
	v_fma_f32 v15, -v13, v7, v0
	v_cmp_ge_f32_e64 s0, 0, v14
	v_cndmask_b32_e64 v7, v7, v12, s0
	v_cmp_lt_f32_e64 s0, 0, v15
	v_cndmask_b32_e64 v7, v7, v13, s0
	v_mul_f32_e32 v12, 0x37800000, v7
	v_cndmask_b32_e32 v7, v7, v12, vcc_lo
	v_cmp_class_f32_e64 vcc_lo, v0, 0x260
	v_cndmask_b32_e32 v0, v7, v0, vcc_lo
	v_mul_f32_e32 v7, v6, v0
.LBB37_70:
	s_or_b32 exec_lo, exec_lo, s8
                                        ; implicit-def: $vgpr0
                                        ; implicit-def: $vgpr6
.LBB37_71:
	s_andn2_saveexec_b32 s7, s7
	s_cbranch_execz .LBB37_73
; %bb.72:
	v_div_scale_f32 v7, null, v0, v0, v6
	v_div_scale_f32 v14, vcc_lo, v6, v0, v6
	v_rcp_f32_e32 v12, v7
	v_fma_f32 v13, -v7, v12, 1.0
	v_fmac_f32_e32 v12, v13, v12
	v_mul_f32_e32 v13, v14, v12
	v_fma_f32 v15, -v7, v13, v14
	v_fmac_f32_e32 v13, v15, v12
	v_fma_f32 v7, -v7, v13, v14
	v_div_fmas_f32 v7, v7, v12, v13
	v_div_fixup_f32 v6, v7, v0, v6
	v_fma_f32 v6, v6, v6, 1.0
	v_mul_f32_e32 v7, 0x4f800000, v6
	v_cmp_gt_f32_e32 vcc_lo, 0xf800000, v6
	v_cndmask_b32_e32 v6, v6, v7, vcc_lo
	v_sqrt_f32_e32 v7, v6
	v_add_nc_u32_e32 v12, -1, v7
	v_add_nc_u32_e32 v13, 1, v7
	v_fma_f32 v14, -v12, v7, v6
	v_fma_f32 v15, -v13, v7, v6
	v_cmp_ge_f32_e64 s0, 0, v14
	v_cndmask_b32_e64 v7, v7, v12, s0
	v_cmp_lt_f32_e64 s0, 0, v15
	v_cndmask_b32_e64 v7, v7, v13, s0
	v_mul_f32_e32 v12, 0x37800000, v7
	v_cndmask_b32_e32 v7, v7, v12, vcc_lo
	v_cmp_class_f32_e64 vcc_lo, v6, 0x260
	v_cndmask_b32_e32 v6, v7, v6, vcc_lo
	v_mul_f32_e32 v7, v0, v6
.LBB37_73:
	s_or_b32 exec_lo, exec_lo, s7
	v_cvt_f64_f32_e32 v[6:7], v7
	v_cmp_ne_u32_e32 vcc_lo, 1, v18
	v_cmp_eq_u32_e64 s0, 0, v16
	s_mov_b32 s7, -1
	s_cbranch_vccnz .LBB37_77
; %bb.74:
	v_cvt_f64_f32_e32 v[12:13], v17
	s_cmp_eq_u64 s[24:25], 8
	s_cselect_b32 vcc_lo, -1, 0
	v_cndmask_b32_e32 v4, v13, v4, vcc_lo
	v_cndmask_b32_e32 v3, v12, v3, vcc_lo
	v_cmp_ge_f64_e32 vcc_lo, v[3:4], v[6:7]
	s_and_b32 s8, s0, vcc_lo
	s_and_saveexec_b32 s7, s8
	s_cbranch_execz .LBB37_76
; %bb.75:
	v_mov_b32_e32 v3, s1
	v_mov_b32_e32 v4, s3
	global_store_dwordx2 v[10:11], v[3:4], off
	s_waitcnt_vscnt null, 0x0
	buffer_gl1_inv
	buffer_gl0_inv
.LBB37_76:
	s_or_b32 exec_lo, exec_lo, s7
	s_mov_b32 s7, 0
.LBB37_77:
	s_andn2_b32 vcc_lo, exec_lo, s7
	s_cbranch_vccnz .LBB37_88
; %bb.78:
	s_load_dwordx2 s[4:5], s[4:5], 0x48
	v_add_nc_u32_e32 v0, s2, v5
	s_waitcnt lgkmcnt(0)
	v_cmp_ge_f64_e32 vcc_lo, s[4:5], v[6:7]
	s_and_b32 s2, s0, vcc_lo
	s_and_saveexec_b32 s1, s2
	s_cbranch_execz .LBB37_83
; %bb.79:
	s_mov_b32 s3, exec_lo
	s_brev_b32 s2, -2
.LBB37_80:                              ; =>This Inner Loop Header: Depth=1
	s_ff1_i32_b32 s4, s3
	v_readlane_b32 s5, v0, s4
	s_lshl_b32 s4, 1, s4
	s_andn2_b32 s3, s3, s4
	s_min_i32 s2, s2, s5
	s_cmp_lg_u32 s3, 0
	s_cbranch_scc1 .LBB37_80
; %bb.81:
	v_mbcnt_lo_u32_b32 v3, exec_lo, 0
	s_mov_b32 s3, exec_lo
	v_cmpx_eq_u32_e32 0, v3
	s_xor_b32 s3, exec_lo, s3
	s_cbranch_execz .LBB37_83
; %bb.82:
	v_mov_b32_e32 v3, 0
	v_mov_b32_e32 v4, s2
	global_atomic_smin v3, v4, s[22:23]
.LBB37_83:
	s_or_b32 exec_lo, exec_lo, s1
	v_cmp_eq_f32_e32 vcc_lo, 0, v8
	v_cmp_eq_f32_e64 s1, 0, v9
	s_and_b32 s1, vcc_lo, s1
	s_and_b32 s0, s0, s1
	s_and_b32 exec_lo, exec_lo, s0
	s_cbranch_execz .LBB37_88
; %bb.84:
	s_mov_b32 s1, exec_lo
	s_brev_b32 s0, -2
.LBB37_85:                              ; =>This Inner Loop Header: Depth=1
	s_ff1_i32_b32 s2, s1
	v_readlane_b32 s3, v0, s2
	s_lshl_b32 s2, 1, s2
	s_andn2_b32 s1, s1, s2
	s_min_i32 s0, s0, s3
	s_cmp_lg_u32 s1, 0
	s_cbranch_scc1 .LBB37_85
; %bb.86:
	v_mbcnt_lo_u32_b32 v0, exec_lo, 0
	s_mov_b32 s1, exec_lo
	v_cmpx_eq_u32_e32 0, v0
	s_xor_b32 s1, exec_lo, s1
	s_cbranch_execz .LBB37_88
; %bb.87:
	v_mov_b32_e32 v0, 0
	v_mov_b32_e32 v3, s0
	global_atomic_smin v0, v3, s[20:21]
.LBB37_88:
	s_or_b32 exec_lo, exec_lo, s6
	v_cmp_eq_u32_e32 vcc_lo, 0, v16
	s_waitcnt_vscnt null, 0x0
	buffer_gl1_inv
	buffer_gl0_inv
	s_and_b32 exec_lo, exec_lo, vcc_lo
	s_cbranch_execz .LBB37_90
; %bb.89:
	v_add_co_u32 v0, vcc_lo, s16, v1
	v_add_co_ci_u32_e64 v1, null, s17, v2, vcc_lo
	v_mov_b32_e32 v2, 1
	global_store_dword v[0:1], v2, off
.LBB37_90:
	s_endpgm
	.section	.rodata,"a",@progbits
	.p2align	6, 0x0
	.amdhsa_kernel _ZN9rocsparseL12csrilu0_hashILj256ELj64ELj16E21rocsparse_complex_numIfEEEviPKiS4_PT2_S4_PiS4_S7_S7_d21rocsparse_index_base_imNS_24const_host_device_scalarIfEENS9_IdEENS9_IS5_EEb
		.amdhsa_group_segment_fixed_size 32768
		.amdhsa_private_segment_fixed_size 0
		.amdhsa_kernarg_size 124
		.amdhsa_user_sgpr_count 6
		.amdhsa_user_sgpr_private_segment_buffer 1
		.amdhsa_user_sgpr_dispatch_ptr 0
		.amdhsa_user_sgpr_queue_ptr 0
		.amdhsa_user_sgpr_kernarg_segment_ptr 1
		.amdhsa_user_sgpr_dispatch_id 0
		.amdhsa_user_sgpr_flat_scratch_init 0
		.amdhsa_user_sgpr_private_segment_size 0
		.amdhsa_wavefront_size32 1
		.amdhsa_uses_dynamic_stack 0
		.amdhsa_system_sgpr_private_segment_wavefront_offset 0
		.amdhsa_system_sgpr_workgroup_id_x 1
		.amdhsa_system_sgpr_workgroup_id_y 0
		.amdhsa_system_sgpr_workgroup_id_z 0
		.amdhsa_system_sgpr_workgroup_info 0
		.amdhsa_system_vgpr_workitem_id 0
		.amdhsa_next_free_vgpr 113
		.amdhsa_next_free_sgpr 41
		.amdhsa_reserve_vcc 1
		.amdhsa_reserve_flat_scratch 0
		.amdhsa_float_round_mode_32 0
		.amdhsa_float_round_mode_16_64 0
		.amdhsa_float_denorm_mode_32 3
		.amdhsa_float_denorm_mode_16_64 3
		.amdhsa_dx10_clamp 1
		.amdhsa_ieee_mode 1
		.amdhsa_fp16_overflow 0
		.amdhsa_workgroup_processor_mode 1
		.amdhsa_memory_ordered 1
		.amdhsa_forward_progress 1
		.amdhsa_shared_vgpr_count 0
		.amdhsa_exception_fp_ieee_invalid_op 0
		.amdhsa_exception_fp_denorm_src 0
		.amdhsa_exception_fp_ieee_div_zero 0
		.amdhsa_exception_fp_ieee_overflow 0
		.amdhsa_exception_fp_ieee_underflow 0
		.amdhsa_exception_fp_ieee_inexact 0
		.amdhsa_exception_int_div_zero 0
	.end_amdhsa_kernel
	.section	.text._ZN9rocsparseL12csrilu0_hashILj256ELj64ELj16E21rocsparse_complex_numIfEEEviPKiS4_PT2_S4_PiS4_S7_S7_d21rocsparse_index_base_imNS_24const_host_device_scalarIfEENS9_IdEENS9_IS5_EEb,"axG",@progbits,_ZN9rocsparseL12csrilu0_hashILj256ELj64ELj16E21rocsparse_complex_numIfEEEviPKiS4_PT2_S4_PiS4_S7_S7_d21rocsparse_index_base_imNS_24const_host_device_scalarIfEENS9_IdEENS9_IS5_EEb,comdat
.Lfunc_end37:
	.size	_ZN9rocsparseL12csrilu0_hashILj256ELj64ELj16E21rocsparse_complex_numIfEEEviPKiS4_PT2_S4_PiS4_S7_S7_d21rocsparse_index_base_imNS_24const_host_device_scalarIfEENS9_IdEENS9_IS5_EEb, .Lfunc_end37-_ZN9rocsparseL12csrilu0_hashILj256ELj64ELj16E21rocsparse_complex_numIfEEEviPKiS4_PT2_S4_PiS4_S7_S7_d21rocsparse_index_base_imNS_24const_host_device_scalarIfEENS9_IdEENS9_IS5_EEb
                                        ; -- End function
	.set _ZN9rocsparseL12csrilu0_hashILj256ELj64ELj16E21rocsparse_complex_numIfEEEviPKiS4_PT2_S4_PiS4_S7_S7_d21rocsparse_index_base_imNS_24const_host_device_scalarIfEENS9_IdEENS9_IS5_EEb.num_vgpr, 27
	.set _ZN9rocsparseL12csrilu0_hashILj256ELj64ELj16E21rocsparse_complex_numIfEEEviPKiS4_PT2_S4_PiS4_S7_S7_d21rocsparse_index_base_imNS_24const_host_device_scalarIfEENS9_IdEENS9_IS5_EEb.num_agpr, 0
	.set _ZN9rocsparseL12csrilu0_hashILj256ELj64ELj16E21rocsparse_complex_numIfEEEviPKiS4_PT2_S4_PiS4_S7_S7_d21rocsparse_index_base_imNS_24const_host_device_scalarIfEENS9_IdEENS9_IS5_EEb.numbered_sgpr, 41
	.set _ZN9rocsparseL12csrilu0_hashILj256ELj64ELj16E21rocsparse_complex_numIfEEEviPKiS4_PT2_S4_PiS4_S7_S7_d21rocsparse_index_base_imNS_24const_host_device_scalarIfEENS9_IdEENS9_IS5_EEb.num_named_barrier, 0
	.set _ZN9rocsparseL12csrilu0_hashILj256ELj64ELj16E21rocsparse_complex_numIfEEEviPKiS4_PT2_S4_PiS4_S7_S7_d21rocsparse_index_base_imNS_24const_host_device_scalarIfEENS9_IdEENS9_IS5_EEb.private_seg_size, 0
	.set _ZN9rocsparseL12csrilu0_hashILj256ELj64ELj16E21rocsparse_complex_numIfEEEviPKiS4_PT2_S4_PiS4_S7_S7_d21rocsparse_index_base_imNS_24const_host_device_scalarIfEENS9_IdEENS9_IS5_EEb.uses_vcc, 1
	.set _ZN9rocsparseL12csrilu0_hashILj256ELj64ELj16E21rocsparse_complex_numIfEEEviPKiS4_PT2_S4_PiS4_S7_S7_d21rocsparse_index_base_imNS_24const_host_device_scalarIfEENS9_IdEENS9_IS5_EEb.uses_flat_scratch, 0
	.set _ZN9rocsparseL12csrilu0_hashILj256ELj64ELj16E21rocsparse_complex_numIfEEEviPKiS4_PT2_S4_PiS4_S7_S7_d21rocsparse_index_base_imNS_24const_host_device_scalarIfEENS9_IdEENS9_IS5_EEb.has_dyn_sized_stack, 0
	.set _ZN9rocsparseL12csrilu0_hashILj256ELj64ELj16E21rocsparse_complex_numIfEEEviPKiS4_PT2_S4_PiS4_S7_S7_d21rocsparse_index_base_imNS_24const_host_device_scalarIfEENS9_IdEENS9_IS5_EEb.has_recursion, 0
	.set _ZN9rocsparseL12csrilu0_hashILj256ELj64ELj16E21rocsparse_complex_numIfEEEviPKiS4_PT2_S4_PiS4_S7_S7_d21rocsparse_index_base_imNS_24const_host_device_scalarIfEENS9_IdEENS9_IS5_EEb.has_indirect_call, 0
	.section	.AMDGPU.csdata,"",@progbits
; Kernel info:
; codeLenInByte = 3280
; TotalNumSgprs: 43
; NumVgprs: 27
; ScratchSize: 0
; MemoryBound: 0
; FloatMode: 240
; IeeeMode: 1
; LDSByteSize: 32768 bytes/workgroup (compile time only)
; SGPRBlocks: 0
; VGPRBlocks: 14
; NumSGPRsForWavesPerEU: 43
; NumVGPRsForWavesPerEU: 113
; Occupancy: 8
; WaveLimiterHint : 1
; COMPUTE_PGM_RSRC2:SCRATCH_EN: 0
; COMPUTE_PGM_RSRC2:USER_SGPR: 6
; COMPUTE_PGM_RSRC2:TRAP_HANDLER: 0
; COMPUTE_PGM_RSRC2:TGID_X_EN: 1
; COMPUTE_PGM_RSRC2:TGID_Y_EN: 0
; COMPUTE_PGM_RSRC2:TGID_Z_EN: 0
; COMPUTE_PGM_RSRC2:TIDIG_COMP_CNT: 0
	.section	.text._ZN9rocsparseL17csrilu0_binsearchILj256ELj64ELb0E21rocsparse_complex_numIfEEEviPKiS4_PT2_S4_PiS4_S7_S7_d21rocsparse_index_base_imNS_24const_host_device_scalarIfEENS9_IdEENS9_IS5_EEb,"axG",@progbits,_ZN9rocsparseL17csrilu0_binsearchILj256ELj64ELb0E21rocsparse_complex_numIfEEEviPKiS4_PT2_S4_PiS4_S7_S7_d21rocsparse_index_base_imNS_24const_host_device_scalarIfEENS9_IdEENS9_IS5_EEb,comdat
	.globl	_ZN9rocsparseL17csrilu0_binsearchILj256ELj64ELb0E21rocsparse_complex_numIfEEEviPKiS4_PT2_S4_PiS4_S7_S7_d21rocsparse_index_base_imNS_24const_host_device_scalarIfEENS9_IdEENS9_IS5_EEb ; -- Begin function _ZN9rocsparseL17csrilu0_binsearchILj256ELj64ELb0E21rocsparse_complex_numIfEEEviPKiS4_PT2_S4_PiS4_S7_S7_d21rocsparse_index_base_imNS_24const_host_device_scalarIfEENS9_IdEENS9_IS5_EEb
	.p2align	8
	.type	_ZN9rocsparseL17csrilu0_binsearchILj256ELj64ELb0E21rocsparse_complex_numIfEEEviPKiS4_PT2_S4_PiS4_S7_S7_d21rocsparse_index_base_imNS_24const_host_device_scalarIfEENS9_IdEENS9_IS5_EEb,@function
_ZN9rocsparseL17csrilu0_binsearchILj256ELj64ELb0E21rocsparse_complex_numIfEEEviPKiS4_PT2_S4_PiS4_S7_S7_d21rocsparse_index_base_imNS_24const_host_device_scalarIfEENS9_IdEENS9_IS5_EEb: ; @_ZN9rocsparseL17csrilu0_binsearchILj256ELj64ELb0E21rocsparse_complex_numIfEEEviPKiS4_PT2_S4_PiS4_S7_S7_d21rocsparse_index_base_imNS_24const_host_device_scalarIfEENS9_IdEENS9_IS5_EEb
; %bb.0:
	s_clause 0x2
	s_load_dword s0, s[4:5], 0x78
	s_load_dwordx2 s[2:3], s[4:5], 0x50
	s_load_dwordx8 s[24:31], s[4:5], 0x58
	s_waitcnt lgkmcnt(0)
	s_bitcmp1_b32 s0, 0
	s_cselect_b32 s7, -1, 0
	s_cmp_eq_u32 s3, 0
	s_cselect_b32 s9, -1, 0
	s_cmp_lg_u32 s3, 0
	s_cselect_b32 s3, -1, 0
	s_or_b32 s10, s9, s7
	s_xor_b32 s8, s10, -1
	s_and_b32 s0, s9, exec_lo
	s_cselect_b32 s1, 0, s29
	s_cselect_b32 s0, 0, s28
	s_and_b32 vcc_lo, exec_lo, s10
	s_cbranch_vccnz .LBB38_2
; %bb.1:
	s_load_dword s0, s[26:27], 0x0
	s_waitcnt lgkmcnt(0)
	v_mov_b32_e32 v16, s0
	s_mov_b64 s[0:1], s[28:29]
	v_mov_b32_e32 v4, s1
	v_mov_b32_e32 v3, s0
	s_andn2_b32 vcc_lo, exec_lo, s8
	s_cbranch_vccz .LBB38_3
	s_branch .LBB38_4
.LBB38_2:
	v_cndmask_b32_e64 v16, s26, 0, s9
	v_mov_b32_e32 v4, s1
	v_mov_b32_e32 v3, s0
	s_andn2_b32 vcc_lo, exec_lo, s8
	s_cbranch_vccnz .LBB38_4
.LBB38_3:
	v_mov_b32_e32 v1, s28
	v_mov_b32_e32 v2, s29
	flat_load_dwordx2 v[3:4], v[1:2]
.LBB38_4:
	v_cndmask_b32_e64 v17, 0, 1, s3
	s_mov_b32 s1, 0
	s_andn2_b32 vcc_lo, exec_lo, s3
	s_mov_b32 s3, 0
	s_cbranch_vccnz .LBB38_10
; %bb.5:
	s_xor_b32 s0, s7, -1
	s_mov_b32 s1, s30
	v_cndmask_b32_e64 v1, 0, 1, s0
	s_andn2_b32 vcc_lo, exec_lo, s0
	s_cbranch_vccnz .LBB38_7
; %bb.6:
	s_load_dword s1, s[30:31], 0x0
.LBB38_7:
	v_cmp_ne_u32_e32 vcc_lo, 1, v1
	s_cbranch_vccnz .LBB38_9
; %bb.8:
	s_load_dword s31, s[30:31], 0x4
.LBB38_9:
	s_waitcnt lgkmcnt(0)
	s_mov_b32 s3, s31
.LBB38_10:
	s_load_dword s0, s[4:5], 0x0
	v_lshrrev_b32_e32 v1, 6, v0
	s_lshl_b32 s6, s6, 2
	v_and_or_b32 v1, 0x3fffffc, s6, v1
	s_waitcnt lgkmcnt(0)
	v_cmp_gt_i32_e32 vcc_lo, s0, v1
	s_and_saveexec_b32 s0, vcc_lo
	s_cbranch_execz .LBB38_52
; %bb.11:
	s_load_dwordx16 s[8:23], s[4:5], 0x8
	v_lshlrev_b32_e32 v1, 2, v1
	v_and_b32_e32 v0, 63, v0
	s_mov_b32 s6, exec_lo
	s_waitcnt lgkmcnt(0)
	global_load_dword v5, v1, s[18:19]
	s_waitcnt vmcnt(0)
	v_ashrrev_i32_e32 v6, 31, v5
	v_lshlrev_b64 v[1:2], 2, v[5:6]
	v_add_co_u32 v8, vcc_lo, s8, v1
	v_add_co_ci_u32_e64 v9, null, s9, v2, vcc_lo
	v_add_co_u32 v6, vcc_lo, s14, v1
	v_add_co_ci_u32_e64 v7, null, s15, v2, vcc_lo
	global_load_dword v10, v[8:9], off
	global_load_dword v6, v[6:7], off
	s_waitcnt vmcnt(1)
	v_subrev_nc_u32_e32 v7, s2, v10
	s_waitcnt vmcnt(0)
	v_cmpx_lt_i32_e64 v7, v6
	s_cbranch_execz .LBB38_28
; %bb.12:
	global_load_dword v8, v[8:9], off offset:4
	v_add_nc_u32_e32 v18, 1, v0
	s_mov_b32 s7, 0
	s_waitcnt vmcnt(0)
	v_xad_u32 v19, s2, -1, v8
	s_branch .LBB38_15
.LBB38_13:                              ;   in Loop: Header=BB38_15 Depth=1
	s_or_b32 exec_lo, exec_lo, s18
	v_cmp_ge_i32_e32 vcc_lo, v7, v6
	s_orn2_b32 s18, vcc_lo, exec_lo
.LBB38_14:                              ;   in Loop: Header=BB38_15 Depth=1
	s_or_b32 exec_lo, exec_lo, s0
	s_and_b32 s0, exec_lo, s18
	s_or_b32 s7, s0, s7
	s_andn2_b32 exec_lo, exec_lo, s7
	s_cbranch_execz .LBB38_28
.LBB38_15:                              ; =>This Loop Header: Depth=1
                                        ;     Child Loop BB38_17 Depth 2
                                        ;     Child Loop BB38_22 Depth 2
                                        ;       Child Loop BB38_24 Depth 3
	v_ashrrev_i32_e32 v8, 31, v7
	s_mov_b32 s0, exec_lo
	v_lshlrev_b64 v[9:10], 2, v[7:8]
	v_lshlrev_b64 v[12:13], 3, v[7:8]
	v_add_co_u32 v9, vcc_lo, s10, v9
	v_add_co_ci_u32_e64 v10, null, s11, v10, vcc_lo
	v_add_co_u32 v12, vcc_lo, s12, v12
	v_add_co_ci_u32_e64 v13, null, s13, v13, vcc_lo
	global_load_dword v9, v[9:10], off
	s_waitcnt vmcnt(0)
	v_subrev_nc_u32_e32 v9, s2, v9
	v_ashrrev_i32_e32 v10, 31, v9
	v_lshlrev_b64 v[8:9], 2, v[9:10]
	v_add_co_u32 v14, vcc_lo, s8, v8
	v_add_co_ci_u32_e64 v15, null, s9, v9, vcc_lo
	v_add_co_u32 v20, vcc_lo, s14, v8
	v_add_co_ci_u32_e64 v21, null, s15, v9, vcc_lo
	;; [unrolled: 2-line block ×3, first 2 shown]
	global_load_dwordx2 v[8:9], v[12:13], off
	global_load_dword v15, v[14:15], off offset:4
	global_load_dword v14, v[20:21], off
	global_load_dword v20, v[10:11], off glc dlc
	s_waitcnt vmcnt(0)
	v_cmpx_eq_u32_e32 0, v20
	s_cbranch_execz .LBB38_18
; %bb.16:                               ;   in Loop: Header=BB38_15 Depth=1
	s_mov_b32 s18, 0
.LBB38_17:                              ;   Parent Loop BB38_15 Depth=1
                                        ; =>  This Inner Loop Header: Depth=2
	global_load_dword v20, v[10:11], off glc dlc
	s_waitcnt vmcnt(0)
	v_cmp_ne_u32_e32 vcc_lo, 0, v20
	s_or_b32 s18, vcc_lo, s18
	s_andn2_b32 exec_lo, exec_lo, s18
	s_cbranch_execnz .LBB38_17
.LBB38_18:                              ;   in Loop: Header=BB38_15 Depth=1
	s_or_b32 exec_lo, exec_lo, s0
	v_subrev_nc_u32_e32 v20, s2, v15
	v_cmp_eq_u32_e32 vcc_lo, -1, v14
	buffer_gl1_inv
	buffer_gl0_inv
	s_mov_b32 s18, -1
	v_add_nc_u32_e32 v10, -1, v20
	v_cndmask_b32_e32 v10, v14, v10, vcc_lo
	v_ashrrev_i32_e32 v11, 31, v10
	v_lshlrev_b64 v[14:15], 3, v[10:11]
	v_add_co_u32 v14, vcc_lo, s12, v14
	v_add_co_ci_u32_e64 v15, null, s13, v15, vcc_lo
	global_load_dwordx2 v[14:15], v[14:15], off
	s_waitcnt vmcnt(0)
	v_cmp_neq_f32_e32 vcc_lo, 0, v14
	v_cmp_neq_f32_e64 s0, 0, v15
	s_or_b32 s0, vcc_lo, s0
	s_and_saveexec_b32 s19, s0
	s_xor_b32 s0, exec_lo, s19
	s_cbranch_execz .LBB38_14
; %bb.19:                               ;   in Loop: Header=BB38_15 Depth=1
	v_mul_f32_e32 v11, v15, v15
	v_add_nc_u32_e32 v7, 1, v7
	s_mov_b32 s18, exec_lo
	v_fmac_f32_e32 v11, v14, v14
	v_div_scale_f32 v21, null, v11, v11, 1.0
	v_div_scale_f32 v24, vcc_lo, 1.0, v11, 1.0
	v_rcp_f32_e32 v22, v21
	v_fma_f32 v23, -v21, v22, 1.0
	v_fmac_f32_e32 v22, v23, v22
	v_mul_f32_e32 v23, v24, v22
	v_fma_f32 v25, -v21, v23, v24
	v_fmac_f32_e32 v23, v25, v22
	v_fma_f32 v21, -v21, v23, v24
	v_mul_f32_e32 v24, v9, v15
	v_mul_f32_e64 v15, v15, -v8
	v_div_fmas_f32 v21, v21, v22, v23
	v_fmac_f32_e32 v24, v8, v14
	v_fmac_f32_e32 v15, v9, v14
	v_add_nc_u32_e32 v8, v18, v10
	v_div_fixup_f32 v11, v21, v11, 1.0
	v_mul_f32_e32 v10, v24, v11
	v_mul_f32_e32 v11, v15, v11
	global_store_dwordx2 v[12:13], v[10:11], off
	v_cmpx_lt_i32_e64 v8, v20
	s_cbranch_execz .LBB38_13
; %bb.20:                               ;   in Loop: Header=BB38_15 Depth=1
	v_mov_b32_e32 v12, v7
	s_mov_b32 s19, 0
	s_branch .LBB38_22
.LBB38_21:                              ;   in Loop: Header=BB38_22 Depth=2
	s_or_b32 exec_lo, exec_lo, s26
	v_add_nc_u32_e32 v8, 64, v8
	v_cmp_ge_i32_e32 vcc_lo, v8, v20
	s_or_b32 s19, vcc_lo, s19
	s_andn2_b32 exec_lo, exec_lo, s19
	s_cbranch_execz .LBB38_13
.LBB38_22:                              ;   Parent Loop BB38_15 Depth=1
                                        ; =>  This Loop Header: Depth=2
                                        ;       Child Loop BB38_24 Depth 3
	v_add_nc_u32_e32 v9, v12, v19
	s_mov_b32 s26, exec_lo
	v_ashrrev_i32_e32 v13, 1, v9
	v_ashrrev_i32_e32 v9, 31, v8
	;; [unrolled: 1-line block ×3, first 2 shown]
	v_lshlrev_b64 v[21:22], 2, v[8:9]
	v_lshlrev_b64 v[14:15], 2, v[13:14]
	v_add_co_u32 v21, vcc_lo, s10, v21
	v_add_co_ci_u32_e64 v22, null, s11, v22, vcc_lo
	v_add_co_u32 v23, vcc_lo, s10, v14
	v_add_co_ci_u32_e64 v24, null, s11, v15, vcc_lo
	s_clause 0x1
	global_load_dword v15, v[21:22], off
	global_load_dword v14, v[23:24], off
	v_cmpx_lt_i32_e64 v12, v19
	s_cbranch_execz .LBB38_26
; %bb.23:                               ;   in Loop: Header=BB38_22 Depth=2
	v_mov_b32_e32 v21, v19
	s_mov_b32 s27, 0
	.p2align	6
.LBB38_24:                              ;   Parent Loop BB38_15 Depth=1
                                        ;     Parent Loop BB38_22 Depth=2
                                        ; =>    This Inner Loop Header: Depth=3
	v_add_nc_u32_e32 v22, 1, v13
	s_waitcnt vmcnt(0)
	v_cmp_lt_i32_e32 vcc_lo, v14, v15
	v_cndmask_b32_e32 v21, v13, v21, vcc_lo
	v_cndmask_b32_e32 v12, v12, v22, vcc_lo
	v_add_nc_u32_e32 v13, v21, v12
	v_ashrrev_i32_e32 v13, 1, v13
	v_ashrrev_i32_e32 v14, 31, v13
	v_lshlrev_b64 v[22:23], 2, v[13:14]
	v_add_co_u32 v22, vcc_lo, s10, v22
	v_add_co_ci_u32_e64 v23, null, s11, v23, vcc_lo
	v_cmp_ge_i32_e32 vcc_lo, v12, v21
	global_load_dword v14, v[22:23], off
	s_or_b32 s27, vcc_lo, s27
	s_andn2_b32 exec_lo, exec_lo, s27
	s_cbranch_execnz .LBB38_24
; %bb.25:                               ;   in Loop: Header=BB38_22 Depth=2
	s_or_b32 exec_lo, exec_lo, s27
.LBB38_26:                              ;   in Loop: Header=BB38_22 Depth=2
	s_or_b32 exec_lo, exec_lo, s26
	s_mov_b32 s26, exec_lo
	s_waitcnt vmcnt(0)
	v_cmpx_eq_u32_e64 v14, v15
	s_cbranch_execz .LBB38_21
; %bb.27:                               ;   in Loop: Header=BB38_22 Depth=2
	v_ashrrev_i32_e32 v13, 31, v12
	v_lshlrev_b64 v[14:15], 3, v[8:9]
	v_lshlrev_b64 v[21:22], 3, v[12:13]
	v_add_co_u32 v13, vcc_lo, s12, v14
	v_add_co_ci_u32_e64 v14, null, s13, v15, vcc_lo
	v_add_co_u32 v21, vcc_lo, s12, v21
	v_add_co_ci_u32_e64 v22, null, s13, v22, vcc_lo
	s_clause 0x1
	global_load_dwordx2 v[13:14], v[13:14], off
	global_load_dwordx2 v[23:24], v[21:22], off
	s_waitcnt vmcnt(0)
	v_fma_f32 v23, -v10, v13, v23
	v_fma_f32 v9, -v11, v13, v24
	v_fmac_f32_e32 v23, v11, v14
	v_fma_f32 v24, -v10, v14, v9
	global_store_dwordx2 v[21:22], v[23:24], off
	s_branch .LBB38_21
.LBB38_28:
	s_or_b32 exec_lo, exec_lo, s6
	s_mov_b32 s6, exec_lo
	s_waitcnt_vscnt null, 0x0
	buffer_gl0_inv
	v_cmpx_lt_i32_e32 -1, v6
	s_cbranch_execz .LBB38_50
; %bb.29:
	v_mov_b32_e32 v7, 0
	s_mov_b32 s0, exec_lo
	v_lshlrev_b64 v[8:9], 3, v[6:7]
	v_add_co_u32 v10, vcc_lo, s12, v8
	v_add_co_ci_u32_e64 v11, null, s13, v9, vcc_lo
	global_load_dwordx2 v[8:9], v[10:11], off
	s_waitcnt vmcnt(0)
	v_cmp_gt_f32_e32 vcc_lo, 0, v8
	v_cndmask_b32_e64 v6, v8, -v8, vcc_lo
	v_cmp_gt_f32_e32 vcc_lo, 0, v9
	v_cndmask_b32_e64 v12, v9, -v9, vcc_lo
	v_cmpx_ngt_f32_e32 v6, v12
	s_xor_b32 s7, exec_lo, s0
	s_cbranch_execz .LBB38_33
; %bb.30:
	s_mov_b32 s8, exec_lo
	v_cmpx_neq_f32_e32 0, v9
	s_cbranch_execz .LBB38_32
; %bb.31:
	v_div_scale_f32 v7, null, v12, v12, v6
	v_div_scale_f32 v15, vcc_lo, v6, v12, v6
	v_rcp_f32_e32 v13, v7
	v_fma_f32 v14, -v7, v13, 1.0
	v_fmac_f32_e32 v13, v14, v13
	v_mul_f32_e32 v14, v15, v13
	v_fma_f32 v18, -v7, v14, v15
	v_fmac_f32_e32 v14, v18, v13
	v_fma_f32 v7, -v7, v14, v15
	v_div_fmas_f32 v7, v7, v13, v14
	v_div_fixup_f32 v6, v7, v12, v6
	v_fma_f32 v6, v6, v6, 1.0
	v_mul_f32_e32 v7, 0x4f800000, v6
	v_cmp_gt_f32_e32 vcc_lo, 0xf800000, v6
	v_cndmask_b32_e32 v6, v6, v7, vcc_lo
	v_sqrt_f32_e32 v7, v6
	v_add_nc_u32_e32 v13, -1, v7
	v_add_nc_u32_e32 v14, 1, v7
	v_fma_f32 v15, -v13, v7, v6
	v_fma_f32 v18, -v14, v7, v6
	v_cmp_ge_f32_e64 s0, 0, v15
	v_cndmask_b32_e64 v7, v7, v13, s0
	v_cmp_lt_f32_e64 s0, 0, v18
	v_cndmask_b32_e64 v7, v7, v14, s0
	v_mul_f32_e32 v13, 0x37800000, v7
	v_cndmask_b32_e32 v7, v7, v13, vcc_lo
	v_cmp_class_f32_e64 vcc_lo, v6, 0x260
	v_cndmask_b32_e32 v6, v7, v6, vcc_lo
	v_mul_f32_e32 v7, v12, v6
.LBB38_32:
	s_or_b32 exec_lo, exec_lo, s8
                                        ; implicit-def: $vgpr6
                                        ; implicit-def: $vgpr12
.LBB38_33:
	s_andn2_saveexec_b32 s7, s7
	s_cbranch_execz .LBB38_35
; %bb.34:
	v_div_scale_f32 v7, null, v6, v6, v12
	v_div_scale_f32 v15, vcc_lo, v12, v6, v12
	v_rcp_f32_e32 v13, v7
	v_fma_f32 v14, -v7, v13, 1.0
	v_fmac_f32_e32 v13, v14, v13
	v_mul_f32_e32 v14, v15, v13
	v_fma_f32 v18, -v7, v14, v15
	v_fmac_f32_e32 v14, v18, v13
	v_fma_f32 v7, -v7, v14, v15
	v_div_fmas_f32 v7, v7, v13, v14
	v_div_fixup_f32 v7, v7, v6, v12
	v_fma_f32 v7, v7, v7, 1.0
	v_mul_f32_e32 v12, 0x4f800000, v7
	v_cmp_gt_f32_e32 vcc_lo, 0xf800000, v7
	v_cndmask_b32_e32 v7, v7, v12, vcc_lo
	v_sqrt_f32_e32 v12, v7
	v_add_nc_u32_e32 v13, -1, v12
	v_add_nc_u32_e32 v14, 1, v12
	v_fma_f32 v15, -v13, v12, v7
	v_fma_f32 v18, -v14, v12, v7
	v_cmp_ge_f32_e64 s0, 0, v15
	v_cndmask_b32_e64 v12, v12, v13, s0
	v_cmp_lt_f32_e64 s0, 0, v18
	v_cndmask_b32_e64 v12, v12, v14, s0
	v_mul_f32_e32 v13, 0x37800000, v12
	v_cndmask_b32_e32 v12, v12, v13, vcc_lo
	v_cmp_class_f32_e64 vcc_lo, v7, 0x260
	v_cndmask_b32_e32 v7, v12, v7, vcc_lo
	v_mul_f32_e32 v7, v6, v7
.LBB38_35:
	s_or_b32 exec_lo, exec_lo, s7
	v_cvt_f64_f32_e32 v[6:7], v7
	v_cmp_ne_u32_e32 vcc_lo, 1, v17
	v_cmp_eq_u32_e64 s0, 0, v0
	s_mov_b32 s7, -1
	s_cbranch_vccnz .LBB38_39
; %bb.36:
	v_cvt_f64_f32_e32 v[12:13], v16
	s_cmp_eq_u64 s[24:25], 8
	s_cselect_b32 vcc_lo, -1, 0
	v_cndmask_b32_e32 v4, v13, v4, vcc_lo
	v_cndmask_b32_e32 v3, v12, v3, vcc_lo
	v_cmp_ge_f64_e32 vcc_lo, v[3:4], v[6:7]
	s_and_b32 s8, s0, vcc_lo
	s_and_saveexec_b32 s7, s8
	s_cbranch_execz .LBB38_38
; %bb.37:
	v_mov_b32_e32 v3, s1
	v_mov_b32_e32 v4, s3
	global_store_dwordx2 v[10:11], v[3:4], off
.LBB38_38:
	s_or_b32 exec_lo, exec_lo, s7
	s_mov_b32 s7, 0
.LBB38_39:
	s_andn2_b32 vcc_lo, exec_lo, s7
	s_cbranch_vccnz .LBB38_50
; %bb.40:
	s_load_dwordx2 s[4:5], s[4:5], 0x48
	v_add_nc_u32_e32 v3, s2, v5
	s_waitcnt lgkmcnt(0)
	v_cmp_ge_f64_e32 vcc_lo, s[4:5], v[6:7]
	s_and_b32 s2, s0, vcc_lo
	s_and_saveexec_b32 s1, s2
	s_cbranch_execz .LBB38_45
; %bb.41:
	s_mov_b32 s3, exec_lo
	s_brev_b32 s2, -2
.LBB38_42:                              ; =>This Inner Loop Header: Depth=1
	s_ff1_i32_b32 s4, s3
	v_readlane_b32 s5, v3, s4
	s_lshl_b32 s4, 1, s4
	s_andn2_b32 s3, s3, s4
	s_min_i32 s2, s2, s5
	s_cmp_lg_u32 s3, 0
	s_cbranch_scc1 .LBB38_42
; %bb.43:
	v_mbcnt_lo_u32_b32 v4, exec_lo, 0
	s_mov_b32 s3, exec_lo
	v_cmpx_eq_u32_e32 0, v4
	s_xor_b32 s3, exec_lo, s3
	s_cbranch_execz .LBB38_45
; %bb.44:
	v_mov_b32_e32 v4, 0
	v_mov_b32_e32 v5, s2
	global_atomic_smin v4, v5, s[22:23]
.LBB38_45:
	s_or_b32 exec_lo, exec_lo, s1
	v_cmp_eq_f32_e32 vcc_lo, 0, v8
	v_cmp_eq_f32_e64 s1, 0, v9
	s_and_b32 s1, vcc_lo, s1
	s_and_b32 s0, s0, s1
	s_and_b32 exec_lo, exec_lo, s0
	s_cbranch_execz .LBB38_50
; %bb.46:
	s_mov_b32 s1, exec_lo
	s_brev_b32 s0, -2
.LBB38_47:                              ; =>This Inner Loop Header: Depth=1
	s_ff1_i32_b32 s2, s1
	v_readlane_b32 s3, v3, s2
	s_lshl_b32 s2, 1, s2
	s_andn2_b32 s1, s1, s2
	s_min_i32 s0, s0, s3
	s_cmp_lg_u32 s1, 0
	s_cbranch_scc1 .LBB38_47
; %bb.48:
	v_mbcnt_lo_u32_b32 v3, exec_lo, 0
	s_mov_b32 s1, exec_lo
	v_cmpx_eq_u32_e32 0, v3
	s_xor_b32 s1, exec_lo, s1
	s_cbranch_execz .LBB38_50
; %bb.49:
	v_mov_b32_e32 v3, 0
	v_mov_b32_e32 v4, s0
	global_atomic_smin v3, v4, s[20:21]
.LBB38_50:
	s_or_b32 exec_lo, exec_lo, s6
	v_cmp_eq_u32_e32 vcc_lo, 0, v0
	s_waitcnt_vscnt null, 0x0
	buffer_gl1_inv
	buffer_gl0_inv
	s_and_b32 exec_lo, exec_lo, vcc_lo
	s_cbranch_execz .LBB38_52
; %bb.51:
	v_add_co_u32 v0, vcc_lo, s16, v1
	v_add_co_ci_u32_e64 v1, null, s17, v2, vcc_lo
	v_mov_b32_e32 v2, 1
	global_store_dword v[0:1], v2, off
.LBB38_52:
	s_endpgm
	.section	.rodata,"a",@progbits
	.p2align	6, 0x0
	.amdhsa_kernel _ZN9rocsparseL17csrilu0_binsearchILj256ELj64ELb0E21rocsparse_complex_numIfEEEviPKiS4_PT2_S4_PiS4_S7_S7_d21rocsparse_index_base_imNS_24const_host_device_scalarIfEENS9_IdEENS9_IS5_EEb
		.amdhsa_group_segment_fixed_size 0
		.amdhsa_private_segment_fixed_size 0
		.amdhsa_kernarg_size 124
		.amdhsa_user_sgpr_count 6
		.amdhsa_user_sgpr_private_segment_buffer 1
		.amdhsa_user_sgpr_dispatch_ptr 0
		.amdhsa_user_sgpr_queue_ptr 0
		.amdhsa_user_sgpr_kernarg_segment_ptr 1
		.amdhsa_user_sgpr_dispatch_id 0
		.amdhsa_user_sgpr_flat_scratch_init 0
		.amdhsa_user_sgpr_private_segment_size 0
		.amdhsa_wavefront_size32 1
		.amdhsa_uses_dynamic_stack 0
		.amdhsa_system_sgpr_private_segment_wavefront_offset 0
		.amdhsa_system_sgpr_workgroup_id_x 1
		.amdhsa_system_sgpr_workgroup_id_y 0
		.amdhsa_system_sgpr_workgroup_id_z 0
		.amdhsa_system_sgpr_workgroup_info 0
		.amdhsa_system_vgpr_workitem_id 0
		.amdhsa_next_free_vgpr 26
		.amdhsa_next_free_sgpr 32
		.amdhsa_reserve_vcc 1
		.amdhsa_reserve_flat_scratch 0
		.amdhsa_float_round_mode_32 0
		.amdhsa_float_round_mode_16_64 0
		.amdhsa_float_denorm_mode_32 3
		.amdhsa_float_denorm_mode_16_64 3
		.amdhsa_dx10_clamp 1
		.amdhsa_ieee_mode 1
		.amdhsa_fp16_overflow 0
		.amdhsa_workgroup_processor_mode 1
		.amdhsa_memory_ordered 1
		.amdhsa_forward_progress 1
		.amdhsa_shared_vgpr_count 0
		.amdhsa_exception_fp_ieee_invalid_op 0
		.amdhsa_exception_fp_denorm_src 0
		.amdhsa_exception_fp_ieee_div_zero 0
		.amdhsa_exception_fp_ieee_overflow 0
		.amdhsa_exception_fp_ieee_underflow 0
		.amdhsa_exception_fp_ieee_inexact 0
		.amdhsa_exception_int_div_zero 0
	.end_amdhsa_kernel
	.section	.text._ZN9rocsparseL17csrilu0_binsearchILj256ELj64ELb0E21rocsparse_complex_numIfEEEviPKiS4_PT2_S4_PiS4_S7_S7_d21rocsparse_index_base_imNS_24const_host_device_scalarIfEENS9_IdEENS9_IS5_EEb,"axG",@progbits,_ZN9rocsparseL17csrilu0_binsearchILj256ELj64ELb0E21rocsparse_complex_numIfEEEviPKiS4_PT2_S4_PiS4_S7_S7_d21rocsparse_index_base_imNS_24const_host_device_scalarIfEENS9_IdEENS9_IS5_EEb,comdat
.Lfunc_end38:
	.size	_ZN9rocsparseL17csrilu0_binsearchILj256ELj64ELb0E21rocsparse_complex_numIfEEEviPKiS4_PT2_S4_PiS4_S7_S7_d21rocsparse_index_base_imNS_24const_host_device_scalarIfEENS9_IdEENS9_IS5_EEb, .Lfunc_end38-_ZN9rocsparseL17csrilu0_binsearchILj256ELj64ELb0E21rocsparse_complex_numIfEEEviPKiS4_PT2_S4_PiS4_S7_S7_d21rocsparse_index_base_imNS_24const_host_device_scalarIfEENS9_IdEENS9_IS5_EEb
                                        ; -- End function
	.set _ZN9rocsparseL17csrilu0_binsearchILj256ELj64ELb0E21rocsparse_complex_numIfEEEviPKiS4_PT2_S4_PiS4_S7_S7_d21rocsparse_index_base_imNS_24const_host_device_scalarIfEENS9_IdEENS9_IS5_EEb.num_vgpr, 26
	.set _ZN9rocsparseL17csrilu0_binsearchILj256ELj64ELb0E21rocsparse_complex_numIfEEEviPKiS4_PT2_S4_PiS4_S7_S7_d21rocsparse_index_base_imNS_24const_host_device_scalarIfEENS9_IdEENS9_IS5_EEb.num_agpr, 0
	.set _ZN9rocsparseL17csrilu0_binsearchILj256ELj64ELb0E21rocsparse_complex_numIfEEEviPKiS4_PT2_S4_PiS4_S7_S7_d21rocsparse_index_base_imNS_24const_host_device_scalarIfEENS9_IdEENS9_IS5_EEb.numbered_sgpr, 32
	.set _ZN9rocsparseL17csrilu0_binsearchILj256ELj64ELb0E21rocsparse_complex_numIfEEEviPKiS4_PT2_S4_PiS4_S7_S7_d21rocsparse_index_base_imNS_24const_host_device_scalarIfEENS9_IdEENS9_IS5_EEb.num_named_barrier, 0
	.set _ZN9rocsparseL17csrilu0_binsearchILj256ELj64ELb0E21rocsparse_complex_numIfEEEviPKiS4_PT2_S4_PiS4_S7_S7_d21rocsparse_index_base_imNS_24const_host_device_scalarIfEENS9_IdEENS9_IS5_EEb.private_seg_size, 0
	.set _ZN9rocsparseL17csrilu0_binsearchILj256ELj64ELb0E21rocsparse_complex_numIfEEEviPKiS4_PT2_S4_PiS4_S7_S7_d21rocsparse_index_base_imNS_24const_host_device_scalarIfEENS9_IdEENS9_IS5_EEb.uses_vcc, 1
	.set _ZN9rocsparseL17csrilu0_binsearchILj256ELj64ELb0E21rocsparse_complex_numIfEEEviPKiS4_PT2_S4_PiS4_S7_S7_d21rocsparse_index_base_imNS_24const_host_device_scalarIfEENS9_IdEENS9_IS5_EEb.uses_flat_scratch, 0
	.set _ZN9rocsparseL17csrilu0_binsearchILj256ELj64ELb0E21rocsparse_complex_numIfEEEviPKiS4_PT2_S4_PiS4_S7_S7_d21rocsparse_index_base_imNS_24const_host_device_scalarIfEENS9_IdEENS9_IS5_EEb.has_dyn_sized_stack, 0
	.set _ZN9rocsparseL17csrilu0_binsearchILj256ELj64ELb0E21rocsparse_complex_numIfEEEviPKiS4_PT2_S4_PiS4_S7_S7_d21rocsparse_index_base_imNS_24const_host_device_scalarIfEENS9_IdEENS9_IS5_EEb.has_recursion, 0
	.set _ZN9rocsparseL17csrilu0_binsearchILj256ELj64ELb0E21rocsparse_complex_numIfEEEviPKiS4_PT2_S4_PiS4_S7_S7_d21rocsparse_index_base_imNS_24const_host_device_scalarIfEENS9_IdEENS9_IS5_EEb.has_indirect_call, 0
	.section	.AMDGPU.csdata,"",@progbits
; Kernel info:
; codeLenInByte = 2216
; TotalNumSgprs: 34
; NumVgprs: 26
; ScratchSize: 0
; MemoryBound: 0
; FloatMode: 240
; IeeeMode: 1
; LDSByteSize: 0 bytes/workgroup (compile time only)
; SGPRBlocks: 0
; VGPRBlocks: 3
; NumSGPRsForWavesPerEU: 34
; NumVGPRsForWavesPerEU: 26
; Occupancy: 16
; WaveLimiterHint : 1
; COMPUTE_PGM_RSRC2:SCRATCH_EN: 0
; COMPUTE_PGM_RSRC2:USER_SGPR: 6
; COMPUTE_PGM_RSRC2:TRAP_HANDLER: 0
; COMPUTE_PGM_RSRC2:TGID_X_EN: 1
; COMPUTE_PGM_RSRC2:TGID_Y_EN: 0
; COMPUTE_PGM_RSRC2:TGID_Z_EN: 0
; COMPUTE_PGM_RSRC2:TIDIG_COMP_CNT: 0
	.section	.text._ZN9rocsparseL17csrilu0_binsearchILj256ELj64ELb1E21rocsparse_complex_numIdEEEviPKiS4_PT2_S4_PiS4_S7_S7_d21rocsparse_index_base_imNS_24const_host_device_scalarIfEENS9_IdEENS9_IS5_EEb,"axG",@progbits,_ZN9rocsparseL17csrilu0_binsearchILj256ELj64ELb1E21rocsparse_complex_numIdEEEviPKiS4_PT2_S4_PiS4_S7_S7_d21rocsparse_index_base_imNS_24const_host_device_scalarIfEENS9_IdEENS9_IS5_EEb,comdat
	.globl	_ZN9rocsparseL17csrilu0_binsearchILj256ELj64ELb1E21rocsparse_complex_numIdEEEviPKiS4_PT2_S4_PiS4_S7_S7_d21rocsparse_index_base_imNS_24const_host_device_scalarIfEENS9_IdEENS9_IS5_EEb ; -- Begin function _ZN9rocsparseL17csrilu0_binsearchILj256ELj64ELb1E21rocsparse_complex_numIdEEEviPKiS4_PT2_S4_PiS4_S7_S7_d21rocsparse_index_base_imNS_24const_host_device_scalarIfEENS9_IdEENS9_IS5_EEb
	.p2align	8
	.type	_ZN9rocsparseL17csrilu0_binsearchILj256ELj64ELb1E21rocsparse_complex_numIdEEEviPKiS4_PT2_S4_PiS4_S7_S7_d21rocsparse_index_base_imNS_24const_host_device_scalarIfEENS9_IdEENS9_IS5_EEb,@function
_ZN9rocsparseL17csrilu0_binsearchILj256ELj64ELb1E21rocsparse_complex_numIdEEEviPKiS4_PT2_S4_PiS4_S7_S7_d21rocsparse_index_base_imNS_24const_host_device_scalarIfEENS9_IdEENS9_IS5_EEb: ; @_ZN9rocsparseL17csrilu0_binsearchILj256ELj64ELb1E21rocsparse_complex_numIdEEEviPKiS4_PT2_S4_PiS4_S7_S7_d21rocsparse_index_base_imNS_24const_host_device_scalarIfEENS9_IdEENS9_IS5_EEb
; %bb.0:
	s_add_u32 s6, s6, s9
	s_addc_u32 s7, s7, 0
	s_setreg_b32 hwreg(HW_REG_FLAT_SCR_LO), s6
	s_setreg_b32 hwreg(HW_REG_FLAT_SCR_HI), s7
	s_add_u32 s0, s0, s9
	s_clause 0x3
	s_load_dword s9, s[4:5], 0x80
	s_load_dwordx2 s[34:35], s[4:5], 0x50
	s_load_dwordx8 s[24:31], s[4:5], 0x58
	s_load_dwordx2 s[6:7], s[4:5], 0x78
	s_addc_u32 s1, s1, 0
	s_waitcnt lgkmcnt(0)
	s_bitcmp1_b32 s9, 0
	s_cselect_b32 s9, -1, 0
	s_cmp_eq_u32 s35, 0
	v_mov_b32_e32 v1, s31
	s_cselect_b32 s14, -1, 0
	s_cmp_lg_u32 s35, 0
	v_mov_b32_e32 v2, s30
	s_cselect_b32 s12, -1, 0
	s_or_b32 s15, s14, s9
	buffer_store_dword v1, off, s[0:3], 0 offset:4
	s_xor_b32 s13, s15, -1
	s_and_b32 s10, s14, exec_lo
	s_cselect_b32 s11, 0, s29
	s_cselect_b32 s10, 0, s28
	s_and_b32 vcc_lo, exec_lo, s15
	buffer_store_dword v2, off, s[0:3], 0
	s_cbranch_vccnz .LBB39_2
; %bb.1:
	s_load_dword s10, s[26:27], 0x0
	s_waitcnt lgkmcnt(0)
	v_mov_b32_e32 v24, s10
	s_mov_b64 s[10:11], s[28:29]
	v_mov_b32_e32 v16, s11
	v_mov_b32_e32 v15, s10
	s_andn2_b32 vcc_lo, exec_lo, s13
	s_cbranch_vccz .LBB39_3
	s_branch .LBB39_4
.LBB39_2:
	v_cndmask_b32_e64 v24, s26, 0, s14
	v_mov_b32_e32 v16, s11
	v_mov_b32_e32 v15, s10
	s_andn2_b32 vcc_lo, exec_lo, s13
	s_cbranch_vccnz .LBB39_4
.LBB39_3:
	v_mov_b32_e32 v1, s28
	v_mov_b32_e32 v2, s29
	flat_load_dwordx2 v[15:16], v[1:2]
.LBB39_4:
	v_mov_b32_e32 v1, 0
	v_mov_b32_e32 v3, 0
	v_cndmask_b32_e64 v25, 0, 1, s12
	v_mov_b32_e32 v2, 0
	v_mov_b32_e32 v4, 0
	s_andn2_b32 vcc_lo, exec_lo, s12
	s_cbranch_vccnz .LBB39_7
; %bb.5:
	s_mov_b64 s[10:11], src_private_base
	s_xor_b32 s10, s9, -1
	s_and_b32 s9, s9, exec_lo
	s_cselect_b32 s9, 0, s30
	s_cselect_b32 s11, s11, s31
	v_mov_b32_e32 v1, s9
	v_mov_b32_e32 v2, s11
	;; [unrolled: 1-line block ×4, first 2 shown]
	s_andn2_b32 vcc_lo, exec_lo, s10
	flat_load_dwordx2 v[1:2], v[1:2]
	s_cbranch_vccnz .LBB39_7
; %bb.6:
	v_mov_b32_e32 v3, s30
	v_mov_b32_e32 v4, s31
	flat_load_dwordx2 v[3:4], v[3:4] offset:8
.LBB39_7:
	s_load_dword s6, s[4:5], 0x0
	v_lshrrev_b32_e32 v5, 6, v0
	s_lshl_b32 s7, s8, 2
	v_and_or_b32 v5, 0x3fffffc, s7, v5
	s_waitcnt lgkmcnt(0)
	v_cmp_gt_i32_e32 vcc_lo, s6, v5
	s_and_saveexec_b32 s6, vcc_lo
	s_cbranch_execz .LBB39_51
; %bb.8:
	s_load_dwordx16 s[8:23], s[4:5], 0x8
	v_lshlrev_b32_e32 v5, 2, v5
	v_and_b32_e32 v0, 63, v0
	s_mov_b32 s7, exec_lo
	s_waitcnt lgkmcnt(0)
	global_load_dword v17, v5, s[18:19]
	s_waitcnt vmcnt(0)
	v_ashrrev_i32_e32 v18, 31, v17
	v_lshlrev_b64 v[13:14], 2, v[17:18]
	v_add_co_u32 v5, vcc_lo, s8, v13
	v_add_co_ci_u32_e64 v6, null, s9, v14, vcc_lo
	v_add_co_u32 v7, vcc_lo, s14, v13
	v_add_co_ci_u32_e64 v8, null, s15, v14, vcc_lo
	global_load_dword v9, v[5:6], off
	global_load_dword v18, v[7:8], off
	s_waitcnt vmcnt(1)
	v_subrev_nc_u32_e32 v19, s34, v9
	s_waitcnt vmcnt(0)
	v_cmpx_lt_i32_e64 v19, v18
	s_cbranch_execz .LBB39_27
; %bb.9:
	global_load_dword v5, v[5:6], off offset:4
	v_add_nc_u32_e32 v26, 1, v0
	s_mov_b32 s18, 0
	s_waitcnt vmcnt(0)
	v_xad_u32 v27, s34, -1, v5
	s_branch .LBB39_12
.LBB39_10:                              ;   in Loop: Header=BB39_12 Depth=1
	s_or_b32 exec_lo, exec_lo, s19
	v_cmp_ge_i32_e32 vcc_lo, v19, v18
	s_orn2_b32 s19, vcc_lo, exec_lo
.LBB39_11:                              ;   in Loop: Header=BB39_12 Depth=1
	s_or_b32 exec_lo, exec_lo, s6
	s_and_b32 s6, exec_lo, s19
	s_or_b32 s18, s6, s18
	s_andn2_b32 exec_lo, exec_lo, s18
	s_cbranch_execz .LBB39_27
.LBB39_12:                              ; =>This Loop Header: Depth=1
                                        ;     Child Loop BB39_15 Depth 2
                                        ;       Child Loop BB39_16 Depth 3
                                        ;     Child Loop BB39_21 Depth 2
                                        ;       Child Loop BB39_23 Depth 3
	v_ashrrev_i32_e32 v20, 31, v19
	s_mov_b32 s6, exec_lo
	v_lshlrev_b64 v[5:6], 2, v[19:20]
	v_lshlrev_b64 v[7:8], 4, v[19:20]
	v_add_co_u32 v5, vcc_lo, s10, v5
	v_add_co_ci_u32_e64 v6, null, s11, v6, vcc_lo
	v_add_co_u32 v20, vcc_lo, s12, v7
	v_add_co_ci_u32_e64 v21, null, s13, v8, vcc_lo
	global_load_dword v5, v[5:6], off
	s_waitcnt vmcnt(0)
	v_subrev_nc_u32_e32 v5, s34, v5
	v_ashrrev_i32_e32 v6, 31, v5
	v_lshlrev_b64 v[5:6], 2, v[5:6]
	v_add_co_u32 v11, vcc_lo, s8, v5
	v_add_co_ci_u32_e64 v12, null, s9, v6, vcc_lo
	v_add_co_u32 v22, vcc_lo, s14, v5
	v_add_co_ci_u32_e64 v23, null, s15, v6, vcc_lo
	;; [unrolled: 2-line block ×3, first 2 shown]
	global_load_dwordx4 v[5:8], v[20:21], off
	global_load_dword v12, v[11:12], off offset:4
	global_load_dword v11, v[22:23], off
	global_load_dword v22, v[9:10], off glc dlc
	s_waitcnt vmcnt(0)
	v_cmpx_eq_u32_e32 0, v22
	s_cbranch_execz .LBB39_17
; %bb.13:                               ;   in Loop: Header=BB39_12 Depth=1
	s_mov_b32 s19, 0
	s_mov_b32 s26, 0
	s_branch .LBB39_15
	.p2align	6
.LBB39_14:                              ;   in Loop: Header=BB39_15 Depth=2
	global_load_dword v22, v[9:10], off glc dlc
	s_cmpk_lt_u32 s26, 0xf43
	s_cselect_b32 s27, -1, 0
	s_cmp_lg_u32 s27, 0
	s_addc_u32 s26, s26, 0
	s_waitcnt vmcnt(0)
	v_cmp_ne_u32_e32 vcc_lo, 0, v22
	s_or_b32 s19, vcc_lo, s19
	s_andn2_b32 exec_lo, exec_lo, s19
	s_cbranch_execz .LBB39_17
.LBB39_15:                              ;   Parent Loop BB39_12 Depth=1
                                        ; =>  This Loop Header: Depth=2
                                        ;       Child Loop BB39_16 Depth 3
	s_cmp_eq_u32 s26, 0
	s_mov_b32 s27, s26
	s_cbranch_scc1 .LBB39_14
.LBB39_16:                              ;   Parent Loop BB39_12 Depth=1
                                        ;     Parent Loop BB39_15 Depth=2
                                        ; =>    This Inner Loop Header: Depth=3
	s_add_i32 s27, s27, -1
	s_sleep 1
	s_cmp_eq_u32 s27, 0
	s_cbranch_scc0 .LBB39_16
	s_branch .LBB39_14
.LBB39_17:                              ;   in Loop: Header=BB39_12 Depth=1
	s_or_b32 exec_lo, exec_lo, s6
	v_subrev_nc_u32_e32 v28, s34, v12
	v_cmp_eq_u32_e32 vcc_lo, -1, v11
	s_waitcnt_vscnt null, 0x0
	buffer_gl1_inv
	buffer_gl0_inv
	s_mov_b32 s19, -1
	v_add_nc_u32_e32 v9, -1, v28
	v_cndmask_b32_e32 v22, v11, v9, vcc_lo
	v_ashrrev_i32_e32 v23, 31, v22
	v_lshlrev_b64 v[9:10], 4, v[22:23]
	v_add_co_u32 v9, vcc_lo, s12, v9
	v_add_co_ci_u32_e64 v10, null, s13, v10, vcc_lo
	global_load_dwordx4 v[9:12], v[9:10], off
	s_waitcnt vmcnt(0)
	v_cmp_neq_f64_e32 vcc_lo, 0, v[9:10]
	v_cmp_neq_f64_e64 s6, 0, v[11:12]
	s_or_b32 s6, vcc_lo, s6
	s_and_saveexec_b32 s26, s6
	s_xor_b32 s6, exec_lo, s26
	s_cbranch_execz .LBB39_11
; %bb.18:                               ;   in Loop: Header=BB39_12 Depth=1
	v_mul_f64 v[29:30], v[11:12], v[11:12]
	v_add_nc_u32_e32 v19, 1, v19
	s_mov_b32 s19, exec_lo
	v_fma_f64 v[29:30], v[9:10], v[9:10], v[29:30]
	v_div_scale_f64 v[31:32], null, v[29:30], v[29:30], 1.0
	v_div_scale_f64 v[37:38], vcc_lo, 1.0, v[29:30], 1.0
	v_rcp_f64_e32 v[33:34], v[31:32]
	v_fma_f64 v[35:36], -v[31:32], v[33:34], 1.0
	v_fma_f64 v[33:34], v[33:34], v[35:36], v[33:34]
	v_fma_f64 v[35:36], -v[31:32], v[33:34], 1.0
	v_fma_f64 v[33:34], v[33:34], v[35:36], v[33:34]
	v_mul_f64 v[35:36], v[37:38], v[33:34]
	v_fma_f64 v[31:32], -v[31:32], v[35:36], v[37:38]
	v_mul_f64 v[37:38], v[7:8], v[11:12]
	v_mul_f64 v[11:12], v[11:12], -v[5:6]
	v_div_fmas_f64 v[31:32], v[31:32], v[33:34], v[35:36]
	v_fma_f64 v[5:6], v[5:6], v[9:10], v[37:38]
	v_fma_f64 v[7:8], v[7:8], v[9:10], v[11:12]
	v_add_nc_u32_e32 v9, v26, v22
	v_div_fixup_f64 v[29:30], v[31:32], v[29:30], 1.0
	v_mul_f64 v[5:6], v[5:6], v[29:30]
	v_mul_f64 v[7:8], v[7:8], v[29:30]
	global_store_dwordx4 v[20:21], v[5:8], off
	v_cmpx_lt_i32_e64 v9, v28
	s_cbranch_execz .LBB39_10
; %bb.19:                               ;   in Loop: Header=BB39_12 Depth=1
	v_mov_b32_e32 v11, v19
	s_mov_b32 s26, 0
	s_branch .LBB39_21
.LBB39_20:                              ;   in Loop: Header=BB39_21 Depth=2
	s_or_b32 exec_lo, exec_lo, s27
	v_add_nc_u32_e32 v9, 64, v9
	v_cmp_ge_i32_e32 vcc_lo, v9, v28
	s_or_b32 s26, vcc_lo, s26
	s_andn2_b32 exec_lo, exec_lo, s26
	s_cbranch_execz .LBB39_10
.LBB39_21:                              ;   Parent Loop BB39_12 Depth=1
                                        ; =>  This Loop Header: Depth=2
                                        ;       Child Loop BB39_23 Depth 3
	v_add_nc_u32_e32 v10, v11, v27
	s_mov_b32 s27, exec_lo
	v_ashrrev_i32_e32 v20, 1, v10
	v_ashrrev_i32_e32 v10, 31, v9
	;; [unrolled: 1-line block ×3, first 2 shown]
	v_lshlrev_b64 v[22:23], 2, v[9:10]
	v_lshlrev_b64 v[29:30], 2, v[20:21]
	v_add_co_u32 v21, vcc_lo, s10, v22
	v_add_co_ci_u32_e64 v22, null, s11, v23, vcc_lo
	v_add_co_u32 v29, vcc_lo, s10, v29
	v_add_co_ci_u32_e64 v30, null, s11, v30, vcc_lo
	s_clause 0x1
	global_load_dword v12, v[21:22], off
	global_load_dword v21, v[29:30], off
	v_cmpx_lt_i32_e64 v11, v27
	s_cbranch_execz .LBB39_25
; %bb.22:                               ;   in Loop: Header=BB39_21 Depth=2
	v_mov_b32_e32 v22, v27
	s_mov_b32 s28, 0
	.p2align	6
.LBB39_23:                              ;   Parent Loop BB39_12 Depth=1
                                        ;     Parent Loop BB39_21 Depth=2
                                        ; =>    This Inner Loop Header: Depth=3
	v_add_nc_u32_e32 v23, 1, v20
	s_waitcnt vmcnt(0)
	v_cmp_lt_i32_e32 vcc_lo, v21, v12
	v_cndmask_b32_e32 v22, v20, v22, vcc_lo
	v_cndmask_b32_e32 v11, v11, v23, vcc_lo
	v_add_nc_u32_e32 v20, v22, v11
	v_ashrrev_i32_e32 v20, 1, v20
	v_ashrrev_i32_e32 v21, 31, v20
	v_lshlrev_b64 v[29:30], 2, v[20:21]
	v_add_co_u32 v29, vcc_lo, s10, v29
	v_add_co_ci_u32_e64 v30, null, s11, v30, vcc_lo
	v_cmp_ge_i32_e32 vcc_lo, v11, v22
	global_load_dword v21, v[29:30], off
	s_or_b32 s28, vcc_lo, s28
	s_andn2_b32 exec_lo, exec_lo, s28
	s_cbranch_execnz .LBB39_23
; %bb.24:                               ;   in Loop: Header=BB39_21 Depth=2
	s_or_b32 exec_lo, exec_lo, s28
.LBB39_25:                              ;   in Loop: Header=BB39_21 Depth=2
	s_or_b32 exec_lo, exec_lo, s27
	s_mov_b32 s27, exec_lo
	s_waitcnt vmcnt(0)
	v_cmpx_eq_u32_e64 v21, v12
	s_cbranch_execz .LBB39_20
; %bb.26:                               ;   in Loop: Header=BB39_21 Depth=2
	v_ashrrev_i32_e32 v12, 31, v11
	v_lshlrev_b64 v[20:21], 4, v[9:10]
	v_lshlrev_b64 v[22:23], 4, v[11:12]
	v_add_co_u32 v20, vcc_lo, s12, v20
	v_add_co_ci_u32_e64 v21, null, s13, v21, vcc_lo
	v_add_co_u32 v33, vcc_lo, s12, v22
	v_add_co_ci_u32_e64 v34, null, s13, v23, vcc_lo
	s_clause 0x1
	global_load_dwordx4 v[20:23], v[20:21], off
	global_load_dwordx4 v[29:32], v[33:34], off
	s_waitcnt vmcnt(0)
	v_fma_f64 v[29:30], -v[5:6], v[20:21], v[29:30]
	v_fma_f64 v[31:32], -v[7:8], v[20:21], v[31:32]
	v_fma_f64 v[20:21], v[7:8], v[22:23], v[29:30]
	v_fma_f64 v[22:23], -v[5:6], v[22:23], v[31:32]
	global_store_dwordx4 v[33:34], v[20:23], off
	s_branch .LBB39_20
.LBB39_27:
	s_or_b32 exec_lo, exec_lo, s7
	s_mov_b32 s7, exec_lo
	s_waitcnt_vscnt null, 0x0
	buffer_gl0_inv
	v_cmpx_lt_i32_e32 -1, v18
	s_cbranch_execz .LBB39_49
; %bb.28:
	v_mov_b32_e32 v19, 0
	s_mov_b32 s6, exec_lo
	v_lshlrev_b64 v[5:6], 4, v[18:19]
	v_add_co_u32 v9, vcc_lo, s12, v5
	v_add_co_ci_u32_e64 v10, null, s13, v6, vcc_lo
	global_load_dwordx4 v[5:8], v[9:10], off
	s_waitcnt vmcnt(0)
	v_cmp_gt_f64_e32 vcc_lo, 0, v[5:6]
	v_xor_b32_e32 v12, 0x80000000, v6
	v_xor_b32_e32 v18, 0x80000000, v8
	v_mov_b32_e32 v11, v5
	v_mov_b32_e32 v20, v7
	v_cndmask_b32_e32 v12, v6, v12, vcc_lo
	v_cmp_gt_f64_e32 vcc_lo, 0, v[7:8]
	v_cndmask_b32_e32 v21, v8, v18, vcc_lo
                                        ; implicit-def: $vgpr18_vgpr19
	v_cmpx_ngt_f64_e32 v[11:12], v[20:21]
	s_xor_b32 s6, exec_lo, s6
	s_cbranch_execz .LBB39_32
; %bb.29:
	v_mov_b32_e32 v18, 0
	v_mov_b32_e32 v19, 0
	s_mov_b32 s8, exec_lo
	v_cmpx_neq_f64_e32 0, v[7:8]
	s_cbranch_execz .LBB39_31
; %bb.30:
	v_div_scale_f64 v[18:19], null, v[20:21], v[20:21], v[11:12]
	v_div_scale_f64 v[28:29], vcc_lo, v[11:12], v[20:21], v[11:12]
	v_rcp_f64_e32 v[22:23], v[18:19]
	v_fma_f64 v[26:27], -v[18:19], v[22:23], 1.0
	v_fma_f64 v[22:23], v[22:23], v[26:27], v[22:23]
	v_fma_f64 v[26:27], -v[18:19], v[22:23], 1.0
	v_fma_f64 v[22:23], v[22:23], v[26:27], v[22:23]
	v_mul_f64 v[26:27], v[28:29], v[22:23]
	v_fma_f64 v[18:19], -v[18:19], v[26:27], v[28:29]
	v_div_fmas_f64 v[18:19], v[18:19], v[22:23], v[26:27]
	v_div_fixup_f64 v[11:12], v[18:19], v[20:21], v[11:12]
	v_fma_f64 v[11:12], v[11:12], v[11:12], 1.0
	v_cmp_gt_f64_e32 vcc_lo, 0x10000000, v[11:12]
	v_cndmask_b32_e64 v18, 0, 0x100, vcc_lo
	v_ldexp_f64 v[11:12], v[11:12], v18
	v_rsq_f64_e32 v[18:19], v[11:12]
	v_mul_f64 v[22:23], v[11:12], v[18:19]
	v_mul_f64 v[18:19], v[18:19], 0.5
	v_fma_f64 v[26:27], -v[18:19], v[22:23], 0.5
	v_fma_f64 v[22:23], v[22:23], v[26:27], v[22:23]
	v_fma_f64 v[18:19], v[18:19], v[26:27], v[18:19]
	v_fma_f64 v[26:27], -v[22:23], v[22:23], v[11:12]
	v_fma_f64 v[22:23], v[26:27], v[18:19], v[22:23]
	v_fma_f64 v[26:27], -v[22:23], v[22:23], v[11:12]
	v_fma_f64 v[18:19], v[26:27], v[18:19], v[22:23]
	v_cndmask_b32_e64 v22, 0, 0xffffff80, vcc_lo
	v_cmp_class_f64_e64 vcc_lo, v[11:12], 0x260
	v_ldexp_f64 v[18:19], v[18:19], v22
	v_cndmask_b32_e32 v12, v19, v12, vcc_lo
	v_cndmask_b32_e32 v11, v18, v11, vcc_lo
	v_mul_f64 v[18:19], v[20:21], v[11:12]
.LBB39_31:
	s_or_b32 exec_lo, exec_lo, s8
                                        ; implicit-def: $vgpr11_vgpr12
                                        ; implicit-def: $vgpr20_vgpr21
.LBB39_32:
	s_andn2_saveexec_b32 s6, s6
	s_cbranch_execz .LBB39_34
; %bb.33:
	v_div_scale_f64 v[18:19], null, v[11:12], v[11:12], v[20:21]
	v_div_scale_f64 v[28:29], vcc_lo, v[20:21], v[11:12], v[20:21]
	v_rcp_f64_e32 v[22:23], v[18:19]
	v_fma_f64 v[26:27], -v[18:19], v[22:23], 1.0
	v_fma_f64 v[22:23], v[22:23], v[26:27], v[22:23]
	v_fma_f64 v[26:27], -v[18:19], v[22:23], 1.0
	v_fma_f64 v[22:23], v[22:23], v[26:27], v[22:23]
	v_mul_f64 v[26:27], v[28:29], v[22:23]
	v_fma_f64 v[18:19], -v[18:19], v[26:27], v[28:29]
	v_div_fmas_f64 v[18:19], v[18:19], v[22:23], v[26:27]
	v_div_fixup_f64 v[18:19], v[18:19], v[11:12], v[20:21]
	v_fma_f64 v[18:19], v[18:19], v[18:19], 1.0
	v_cmp_gt_f64_e32 vcc_lo, 0x10000000, v[18:19]
	v_cndmask_b32_e64 v20, 0, 0x100, vcc_lo
	v_ldexp_f64 v[18:19], v[18:19], v20
	v_rsq_f64_e32 v[20:21], v[18:19]
	v_mul_f64 v[22:23], v[18:19], v[20:21]
	v_mul_f64 v[20:21], v[20:21], 0.5
	v_fma_f64 v[26:27], -v[20:21], v[22:23], 0.5
	v_fma_f64 v[22:23], v[22:23], v[26:27], v[22:23]
	v_fma_f64 v[20:21], v[20:21], v[26:27], v[20:21]
	v_fma_f64 v[26:27], -v[22:23], v[22:23], v[18:19]
	v_fma_f64 v[22:23], v[26:27], v[20:21], v[22:23]
	v_fma_f64 v[26:27], -v[22:23], v[22:23], v[18:19]
	v_fma_f64 v[20:21], v[26:27], v[20:21], v[22:23]
	v_cndmask_b32_e64 v22, 0, 0xffffff80, vcc_lo
	v_cmp_class_f64_e64 vcc_lo, v[18:19], 0x260
	v_ldexp_f64 v[20:21], v[20:21], v22
	v_cndmask_b32_e32 v19, v21, v19, vcc_lo
	v_cndmask_b32_e32 v18, v20, v18, vcc_lo
	v_mul_f64 v[18:19], v[11:12], v[18:19]
.LBB39_34:
	s_or_b32 exec_lo, exec_lo, s6
	v_cmp_ne_u32_e32 vcc_lo, 1, v25
	v_cmp_eq_u32_e64 s6, 0, v0
	s_mov_b32 s8, -1
	s_cbranch_vccnz .LBB39_38
; %bb.35:
	v_cvt_f64_f32_e32 v[11:12], v24
	s_cmp_eq_u64 s[24:25], 8
	s_cselect_b32 vcc_lo, -1, 0
	v_cndmask_b32_e32 v12, v12, v16, vcc_lo
	v_cndmask_b32_e32 v11, v11, v15, vcc_lo
	v_cmp_le_f64_e32 vcc_lo, v[18:19], v[11:12]
	s_and_b32 s9, s6, vcc_lo
	s_and_saveexec_b32 s8, s9
	s_cbranch_execz .LBB39_37
; %bb.36:
	global_store_dwordx4 v[9:10], v[1:4], off
.LBB39_37:
	s_or_b32 exec_lo, exec_lo, s8
	s_mov_b32 s8, 0
.LBB39_38:
	s_andn2_b32 vcc_lo, exec_lo, s8
	s_cbranch_vccnz .LBB39_49
; %bb.39:
	s_load_dwordx2 s[4:5], s[4:5], 0x48
	v_add_nc_u32_e32 v1, s34, v17
	s_waitcnt lgkmcnt(0)
	v_cmp_ge_f64_e32 vcc_lo, s[4:5], v[18:19]
	s_and_b32 s5, s6, vcc_lo
	s_and_saveexec_b32 s4, s5
	s_cbranch_execz .LBB39_44
; %bb.40:
	s_mov_b32 s8, exec_lo
	s_brev_b32 s5, -2
.LBB39_41:                              ; =>This Inner Loop Header: Depth=1
	s_ff1_i32_b32 s9, s8
	v_readlane_b32 s10, v1, s9
	s_lshl_b32 s9, 1, s9
	s_andn2_b32 s8, s8, s9
	s_min_i32 s5, s5, s10
	s_cmp_lg_u32 s8, 0
	s_cbranch_scc1 .LBB39_41
; %bb.42:
	v_mbcnt_lo_u32_b32 v2, exec_lo, 0
	s_mov_b32 s8, exec_lo
	v_cmpx_eq_u32_e32 0, v2
	s_xor_b32 s8, exec_lo, s8
	s_cbranch_execz .LBB39_44
; %bb.43:
	v_mov_b32_e32 v2, 0
	v_mov_b32_e32 v3, s5
	global_atomic_smin v2, v3, s[22:23]
.LBB39_44:
	s_or_b32 exec_lo, exec_lo, s4
	v_cmp_eq_f64_e32 vcc_lo, 0, v[5:6]
	v_cmp_eq_f64_e64 s4, 0, v[7:8]
	s_and_b32 s4, vcc_lo, s4
	s_and_b32 s4, s6, s4
	s_and_b32 exec_lo, exec_lo, s4
	s_cbranch_execz .LBB39_49
; %bb.45:
	s_mov_b32 s5, exec_lo
	s_brev_b32 s4, -2
.LBB39_46:                              ; =>This Inner Loop Header: Depth=1
	s_ff1_i32_b32 s6, s5
	v_readlane_b32 s8, v1, s6
	s_lshl_b32 s6, 1, s6
	s_andn2_b32 s5, s5, s6
	s_min_i32 s4, s4, s8
	s_cmp_lg_u32 s5, 0
	s_cbranch_scc1 .LBB39_46
; %bb.47:
	v_mbcnt_lo_u32_b32 v1, exec_lo, 0
	s_mov_b32 s5, exec_lo
	v_cmpx_eq_u32_e32 0, v1
	s_xor_b32 s5, exec_lo, s5
	s_cbranch_execz .LBB39_49
; %bb.48:
	v_mov_b32_e32 v1, 0
	v_mov_b32_e32 v2, s4
	global_atomic_smin v1, v2, s[20:21]
.LBB39_49:
	s_or_b32 exec_lo, exec_lo, s7
	v_cmp_eq_u32_e32 vcc_lo, 0, v0
	s_waitcnt_vscnt null, 0x0
	buffer_gl1_inv
	buffer_gl0_inv
	s_and_b32 exec_lo, exec_lo, vcc_lo
	s_cbranch_execz .LBB39_51
; %bb.50:
	v_add_co_u32 v0, vcc_lo, s16, v13
	v_add_co_ci_u32_e64 v1, null, s17, v14, vcc_lo
	v_mov_b32_e32 v2, 1
	global_store_dword v[0:1], v2, off
.LBB39_51:
	s_endpgm
	.section	.rodata,"a",@progbits
	.p2align	6, 0x0
	.amdhsa_kernel _ZN9rocsparseL17csrilu0_binsearchILj256ELj64ELb1E21rocsparse_complex_numIdEEEviPKiS4_PT2_S4_PiS4_S7_S7_d21rocsparse_index_base_imNS_24const_host_device_scalarIfEENS9_IdEENS9_IS5_EEb
		.amdhsa_group_segment_fixed_size 0
		.amdhsa_private_segment_fixed_size 16
		.amdhsa_kernarg_size 132
		.amdhsa_user_sgpr_count 8
		.amdhsa_user_sgpr_private_segment_buffer 1
		.amdhsa_user_sgpr_dispatch_ptr 0
		.amdhsa_user_sgpr_queue_ptr 0
		.amdhsa_user_sgpr_kernarg_segment_ptr 1
		.amdhsa_user_sgpr_dispatch_id 0
		.amdhsa_user_sgpr_flat_scratch_init 1
		.amdhsa_user_sgpr_private_segment_size 0
		.amdhsa_wavefront_size32 1
		.amdhsa_uses_dynamic_stack 0
		.amdhsa_system_sgpr_private_segment_wavefront_offset 1
		.amdhsa_system_sgpr_workgroup_id_x 1
		.amdhsa_system_sgpr_workgroup_id_y 0
		.amdhsa_system_sgpr_workgroup_id_z 0
		.amdhsa_system_sgpr_workgroup_info 0
		.amdhsa_system_vgpr_workitem_id 0
		.amdhsa_next_free_vgpr 39
		.amdhsa_next_free_sgpr 36
		.amdhsa_reserve_vcc 1
		.amdhsa_reserve_flat_scratch 1
		.amdhsa_float_round_mode_32 0
		.amdhsa_float_round_mode_16_64 0
		.amdhsa_float_denorm_mode_32 3
		.amdhsa_float_denorm_mode_16_64 3
		.amdhsa_dx10_clamp 1
		.amdhsa_ieee_mode 1
		.amdhsa_fp16_overflow 0
		.amdhsa_workgroup_processor_mode 1
		.amdhsa_memory_ordered 1
		.amdhsa_forward_progress 1
		.amdhsa_shared_vgpr_count 0
		.amdhsa_exception_fp_ieee_invalid_op 0
		.amdhsa_exception_fp_denorm_src 0
		.amdhsa_exception_fp_ieee_div_zero 0
		.amdhsa_exception_fp_ieee_overflow 0
		.amdhsa_exception_fp_ieee_underflow 0
		.amdhsa_exception_fp_ieee_inexact 0
		.amdhsa_exception_int_div_zero 0
	.end_amdhsa_kernel
	.section	.text._ZN9rocsparseL17csrilu0_binsearchILj256ELj64ELb1E21rocsparse_complex_numIdEEEviPKiS4_PT2_S4_PiS4_S7_S7_d21rocsparse_index_base_imNS_24const_host_device_scalarIfEENS9_IdEENS9_IS5_EEb,"axG",@progbits,_ZN9rocsparseL17csrilu0_binsearchILj256ELj64ELb1E21rocsparse_complex_numIdEEEviPKiS4_PT2_S4_PiS4_S7_S7_d21rocsparse_index_base_imNS_24const_host_device_scalarIfEENS9_IdEENS9_IS5_EEb,comdat
.Lfunc_end39:
	.size	_ZN9rocsparseL17csrilu0_binsearchILj256ELj64ELb1E21rocsparse_complex_numIdEEEviPKiS4_PT2_S4_PiS4_S7_S7_d21rocsparse_index_base_imNS_24const_host_device_scalarIfEENS9_IdEENS9_IS5_EEb, .Lfunc_end39-_ZN9rocsparseL17csrilu0_binsearchILj256ELj64ELb1E21rocsparse_complex_numIdEEEviPKiS4_PT2_S4_PiS4_S7_S7_d21rocsparse_index_base_imNS_24const_host_device_scalarIfEENS9_IdEENS9_IS5_EEb
                                        ; -- End function
	.set _ZN9rocsparseL17csrilu0_binsearchILj256ELj64ELb1E21rocsparse_complex_numIdEEEviPKiS4_PT2_S4_PiS4_S7_S7_d21rocsparse_index_base_imNS_24const_host_device_scalarIfEENS9_IdEENS9_IS5_EEb.num_vgpr, 39
	.set _ZN9rocsparseL17csrilu0_binsearchILj256ELj64ELb1E21rocsparse_complex_numIdEEEviPKiS4_PT2_S4_PiS4_S7_S7_d21rocsparse_index_base_imNS_24const_host_device_scalarIfEENS9_IdEENS9_IS5_EEb.num_agpr, 0
	.set _ZN9rocsparseL17csrilu0_binsearchILj256ELj64ELb1E21rocsparse_complex_numIdEEEviPKiS4_PT2_S4_PiS4_S7_S7_d21rocsparse_index_base_imNS_24const_host_device_scalarIfEENS9_IdEENS9_IS5_EEb.numbered_sgpr, 36
	.set _ZN9rocsparseL17csrilu0_binsearchILj256ELj64ELb1E21rocsparse_complex_numIdEEEviPKiS4_PT2_S4_PiS4_S7_S7_d21rocsparse_index_base_imNS_24const_host_device_scalarIfEENS9_IdEENS9_IS5_EEb.num_named_barrier, 0
	.set _ZN9rocsparseL17csrilu0_binsearchILj256ELj64ELb1E21rocsparse_complex_numIdEEEviPKiS4_PT2_S4_PiS4_S7_S7_d21rocsparse_index_base_imNS_24const_host_device_scalarIfEENS9_IdEENS9_IS5_EEb.private_seg_size, 16
	.set _ZN9rocsparseL17csrilu0_binsearchILj256ELj64ELb1E21rocsparse_complex_numIdEEEviPKiS4_PT2_S4_PiS4_S7_S7_d21rocsparse_index_base_imNS_24const_host_device_scalarIfEENS9_IdEENS9_IS5_EEb.uses_vcc, 1
	.set _ZN9rocsparseL17csrilu0_binsearchILj256ELj64ELb1E21rocsparse_complex_numIdEEEviPKiS4_PT2_S4_PiS4_S7_S7_d21rocsparse_index_base_imNS_24const_host_device_scalarIfEENS9_IdEENS9_IS5_EEb.uses_flat_scratch, 1
	.set _ZN9rocsparseL17csrilu0_binsearchILj256ELj64ELb1E21rocsparse_complex_numIdEEEviPKiS4_PT2_S4_PiS4_S7_S7_d21rocsparse_index_base_imNS_24const_host_device_scalarIfEENS9_IdEENS9_IS5_EEb.has_dyn_sized_stack, 0
	.set _ZN9rocsparseL17csrilu0_binsearchILj256ELj64ELb1E21rocsparse_complex_numIdEEEviPKiS4_PT2_S4_PiS4_S7_S7_d21rocsparse_index_base_imNS_24const_host_device_scalarIfEENS9_IdEENS9_IS5_EEb.has_recursion, 0
	.set _ZN9rocsparseL17csrilu0_binsearchILj256ELj64ELb1E21rocsparse_complex_numIdEEEviPKiS4_PT2_S4_PiS4_S7_S7_d21rocsparse_index_base_imNS_24const_host_device_scalarIfEENS9_IdEENS9_IS5_EEb.has_indirect_call, 0
	.section	.AMDGPU.csdata,"",@progbits
; Kernel info:
; codeLenInByte = 2528
; TotalNumSgprs: 38
; NumVgprs: 39
; ScratchSize: 16
; MemoryBound: 0
; FloatMode: 240
; IeeeMode: 1
; LDSByteSize: 0 bytes/workgroup (compile time only)
; SGPRBlocks: 0
; VGPRBlocks: 4
; NumSGPRsForWavesPerEU: 38
; NumVGPRsForWavesPerEU: 39
; Occupancy: 16
; WaveLimiterHint : 1
; COMPUTE_PGM_RSRC2:SCRATCH_EN: 1
; COMPUTE_PGM_RSRC2:USER_SGPR: 8
; COMPUTE_PGM_RSRC2:TRAP_HANDLER: 0
; COMPUTE_PGM_RSRC2:TGID_X_EN: 1
; COMPUTE_PGM_RSRC2:TGID_Y_EN: 0
; COMPUTE_PGM_RSRC2:TGID_Z_EN: 0
; COMPUTE_PGM_RSRC2:TIDIG_COMP_CNT: 0
	.section	.text._ZN9rocsparseL12csrilu0_hashILj256ELj32ELj1E21rocsparse_complex_numIdEEEviPKiS4_PT2_S4_PiS4_S7_S7_d21rocsparse_index_base_imNS_24const_host_device_scalarIfEENS9_IdEENS9_IS5_EEb,"axG",@progbits,_ZN9rocsparseL12csrilu0_hashILj256ELj32ELj1E21rocsparse_complex_numIdEEEviPKiS4_PT2_S4_PiS4_S7_S7_d21rocsparse_index_base_imNS_24const_host_device_scalarIfEENS9_IdEENS9_IS5_EEb,comdat
	.globl	_ZN9rocsparseL12csrilu0_hashILj256ELj32ELj1E21rocsparse_complex_numIdEEEviPKiS4_PT2_S4_PiS4_S7_S7_d21rocsparse_index_base_imNS_24const_host_device_scalarIfEENS9_IdEENS9_IS5_EEb ; -- Begin function _ZN9rocsparseL12csrilu0_hashILj256ELj32ELj1E21rocsparse_complex_numIdEEEviPKiS4_PT2_S4_PiS4_S7_S7_d21rocsparse_index_base_imNS_24const_host_device_scalarIfEENS9_IdEENS9_IS5_EEb
	.p2align	8
	.type	_ZN9rocsparseL12csrilu0_hashILj256ELj32ELj1E21rocsparse_complex_numIdEEEviPKiS4_PT2_S4_PiS4_S7_S7_d21rocsparse_index_base_imNS_24const_host_device_scalarIfEENS9_IdEENS9_IS5_EEb,@function
_ZN9rocsparseL12csrilu0_hashILj256ELj32ELj1E21rocsparse_complex_numIdEEEviPKiS4_PT2_S4_PiS4_S7_S7_d21rocsparse_index_base_imNS_24const_host_device_scalarIfEENS9_IdEENS9_IS5_EEb: ; @_ZN9rocsparseL12csrilu0_hashILj256ELj32ELj1E21rocsparse_complex_numIdEEEviPKiS4_PT2_S4_PiS4_S7_S7_d21rocsparse_index_base_imNS_24const_host_device_scalarIfEENS9_IdEENS9_IS5_EEb
; %bb.0:
	s_add_u32 s6, s6, s9
	s_addc_u32 s7, s7, 0
	s_setreg_b32 hwreg(HW_REG_FLAT_SCR_LO), s6
	s_setreg_b32 hwreg(HW_REG_FLAT_SCR_HI), s7
	s_add_u32 s0, s0, s9
	s_clause 0x3
	s_load_dword s9, s[4:5], 0x80
	s_load_dwordx2 s[34:35], s[4:5], 0x50
	s_load_dwordx8 s[24:31], s[4:5], 0x58
	s_load_dwordx2 s[6:7], s[4:5], 0x78
	s_addc_u32 s1, s1, 0
	s_waitcnt lgkmcnt(0)
	s_bitcmp1_b32 s9, 0
	s_cselect_b32 s9, -1, 0
	s_cmp_eq_u32 s35, 0
	v_mov_b32_e32 v1, s31
	s_cselect_b32 s14, -1, 0
	s_cmp_lg_u32 s35, 0
	v_mov_b32_e32 v2, s30
	s_cselect_b32 s12, -1, 0
	s_or_b32 s15, s14, s9
	buffer_store_dword v1, off, s[0:3], 0 offset:4
	s_xor_b32 s13, s15, -1
	s_and_b32 s10, s14, exec_lo
	s_cselect_b32 s11, 0, s29
	s_cselect_b32 s10, 0, s28
	s_and_b32 vcc_lo, exec_lo, s15
	buffer_store_dword v2, off, s[0:3], 0
	s_cbranch_vccnz .LBB40_2
; %bb.1:
	s_load_dword s10, s[26:27], 0x0
	s_waitcnt lgkmcnt(0)
	v_mov_b32_e32 v24, s10
	s_mov_b64 s[10:11], s[28:29]
	v_mov_b32_e32 v16, s11
	v_mov_b32_e32 v15, s10
	s_andn2_b32 vcc_lo, exec_lo, s13
	s_cbranch_vccz .LBB40_3
	s_branch .LBB40_4
.LBB40_2:
	v_cndmask_b32_e64 v24, s26, 0, s14
	v_mov_b32_e32 v16, s11
	v_mov_b32_e32 v15, s10
	s_andn2_b32 vcc_lo, exec_lo, s13
	s_cbranch_vccnz .LBB40_4
.LBB40_3:
	v_mov_b32_e32 v1, s28
	v_mov_b32_e32 v2, s29
	flat_load_dwordx2 v[15:16], v[1:2]
.LBB40_4:
	v_mov_b32_e32 v3, 0
	v_mov_b32_e32 v1, 0
	v_cndmask_b32_e64 v25, 0, 1, s12
	v_mov_b32_e32 v4, 0
	v_mov_b32_e32 v2, 0
	s_andn2_b32 vcc_lo, exec_lo, s12
	s_cbranch_vccnz .LBB40_7
; %bb.5:
	s_mov_b64 s[10:11], src_private_base
	s_xor_b32 s10, s9, -1
	s_and_b32 s9, s9, exec_lo
	s_cselect_b32 s9, 0, s30
	s_cselect_b32 s11, s11, s31
	v_mov_b32_e32 v1, s9
	v_mov_b32_e32 v2, s11
	;; [unrolled: 1-line block ×4, first 2 shown]
	s_andn2_b32 vcc_lo, exec_lo, s10
	flat_load_dwordx2 v[1:2], v[1:2]
	s_cbranch_vccnz .LBB40_7
; %bb.6:
	v_mov_b32_e32 v3, s30
	v_mov_b32_e32 v4, s31
	flat_load_dwordx2 v[3:4], v[3:4] offset:8
.LBB40_7:
	s_load_dword s6, s[4:5], 0x0
	v_and_b32_e32 v6, 0xe0, v0
	v_lshrrev_b32_e32 v5, 5, v0
	s_lshl_b32 s7, s8, 3
	v_and_b32_e32 v0, 31, v0
	v_mov_b32_e32 v8, -1
	v_lshl_or_b32 v26, v6, 2, 0x400
	v_and_or_b32 v5, 0x7fffff8, s7, v5
	v_lshl_or_b32 v7, v0, 2, v26
	ds_write_b32 v7, v8
	s_waitcnt vmcnt(0) lgkmcnt(0)
	s_waitcnt_vscnt null, 0x0
	buffer_gl0_inv
	v_cmp_gt_i32_e32 vcc_lo, s6, v5
	s_and_saveexec_b32 s6, vcc_lo
	s_cbranch_execz .LBB40_85
; %bb.8:
	s_load_dwordx16 s[8:23], s[4:5], 0x8
	v_lshlrev_b32_e32 v5, 2, v5
	v_lshlrev_b32_e32 v27, 2, v6
	s_mov_b32 s6, exec_lo
	s_waitcnt lgkmcnt(0)
	global_load_dword v17, v5, s[18:19]
	s_waitcnt vmcnt(0)
	v_ashrrev_i32_e32 v18, 31, v17
	v_lshlrev_b64 v[13:14], 2, v[17:18]
	v_add_co_u32 v7, vcc_lo, s8, v13
	v_add_co_ci_u32_e64 v8, null, s9, v14, vcc_lo
	v_add_co_u32 v9, vcc_lo, s14, v13
	v_add_co_ci_u32_e64 v10, null, s15, v14, vcc_lo
	global_load_dwordx2 v[7:8], v[7:8], off
	global_load_dword v18, v[9:10], off
	s_waitcnt vmcnt(1)
	v_subrev_nc_u32_e32 v19, s34, v7
	v_subrev_nc_u32_e32 v7, s34, v8
	v_add_nc_u32_e32 v5, v19, v0
	v_cmpx_lt_i32_e64 v5, v7
	s_cbranch_execz .LBB40_31
; %bb.9:
	v_mov_b32_e32 v8, -1
	s_mov_b32 s7, 0
	s_branch .LBB40_11
.LBB40_10:                              ;   in Loop: Header=BB40_11 Depth=1
	s_or_b32 exec_lo, exec_lo, s18
	v_add_nc_u32_e32 v5, 32, v5
	v_cmp_ge_i32_e32 vcc_lo, v5, v7
	s_or_b32 s7, vcc_lo, s7
	s_andn2_b32 exec_lo, exec_lo, s7
	s_cbranch_execz .LBB40_31
.LBB40_11:                              ; =>This Loop Header: Depth=1
                                        ;     Child Loop BB40_20 Depth 2
	v_ashrrev_i32_e32 v6, 31, v5
	s_mov_b32 s18, 0
                                        ; implicit-def: $sgpr19
                                        ; implicit-def: $sgpr26
                                        ; implicit-def: $sgpr27
	v_lshlrev_b64 v[9:10], 2, v[5:6]
	v_add_co_u32 v9, vcc_lo, s10, v9
	v_add_co_ci_u32_e64 v10, null, s11, v10, vcc_lo
	global_load_dword v6, v[9:10], off
	v_mov_b32_e32 v9, 32
	s_waitcnt vmcnt(0)
	v_mul_lo_u32 v11, v6, 7
	s_branch .LBB40_20
.LBB40_12:                              ;   in Loop: Header=BB40_20 Depth=2
	s_or_b32 exec_lo, exec_lo, s39
	s_orn2_b32 s37, s37, exec_lo
	s_orn2_b32 s38, s38, exec_lo
.LBB40_13:                              ;   in Loop: Header=BB40_20 Depth=2
	s_or_b32 exec_lo, exec_lo, s36
	s_and_b32 s37, s37, exec_lo
	s_orn2_b32 s36, s38, exec_lo
.LBB40_14:                              ;   in Loop: Header=BB40_20 Depth=2
	s_or_b32 exec_lo, exec_lo, s35
	s_orn2_b32 s35, s37, exec_lo
	s_orn2_b32 s36, s36, exec_lo
.LBB40_15:                              ;   in Loop: Header=BB40_20 Depth=2
	s_or_b32 exec_lo, exec_lo, s33
	s_and_b32 s35, s35, exec_lo
	s_orn2_b32 s33, s36, exec_lo
.LBB40_16:                              ;   in Loop: Header=BB40_20 Depth=2
	s_or_b32 exec_lo, exec_lo, s31
	s_orn2_b32 s31, s35, exec_lo
	s_orn2_b32 s33, s33, exec_lo
.LBB40_17:                              ;   in Loop: Header=BB40_20 Depth=2
	s_or_b32 exec_lo, exec_lo, s30
	s_and_b32 s31, s31, exec_lo
	s_orn2_b32 s30, s33, exec_lo
.LBB40_18:                              ;   in Loop: Header=BB40_20 Depth=2
	s_or_b32 exec_lo, exec_lo, s29
	s_andn2_b32 s27, s27, exec_lo
	s_and_b32 s29, s31, exec_lo
	s_andn2_b32 s26, s26, exec_lo
	s_and_b32 s30, s30, exec_lo
	s_or_b32 s27, s27, s29
	s_or_b32 s26, s26, s30
.LBB40_19:                              ;   in Loop: Header=BB40_20 Depth=2
	s_or_b32 exec_lo, exec_lo, s28
	s_and_b32 s28, exec_lo, s26
	s_or_b32 s18, s28, s18
	s_andn2_b32 s19, s19, exec_lo
	s_and_b32 s28, s27, exec_lo
	s_or_b32 s19, s19, s28
	s_andn2_b32 exec_lo, exec_lo, s18
	s_cbranch_execz .LBB40_29
.LBB40_20:                              ;   Parent Loop BB40_11 Depth=1
                                        ; =>  This Inner Loop Header: Depth=2
	v_and_b32_e32 v10, 31, v11
	s_or_b32 s27, s27, exec_lo
	s_or_b32 s26, s26, exec_lo
	s_mov_b32 s28, exec_lo
	v_lshl_add_u32 v12, v10, 2, v26
	ds_read_b32 v20, v12
	s_waitcnt lgkmcnt(0)
	v_cmpx_ne_u32_e64 v20, v6
	s_cbranch_execz .LBB40_19
; %bb.21:                               ;   in Loop: Header=BB40_20 Depth=2
	ds_cmpst_rtn_b32 v12, v12, v8, v6
	s_mov_b32 s30, -1
	s_mov_b32 s31, 0
	s_mov_b32 s29, exec_lo
	s_waitcnt lgkmcnt(0)
	v_cmpx_ne_u32_e32 -1, v12
	s_cbranch_execz .LBB40_18
; %bb.22:                               ;   in Loop: Header=BB40_20 Depth=2
	v_add_nc_u32_e32 v10, 1, v11
	s_mov_b32 s33, -1
	s_mov_b32 s31, -1
	s_mov_b32 s30, exec_lo
	v_and_b32_e32 v10, 31, v10
	v_lshl_add_u32 v12, v10, 2, v26
	ds_read_b32 v20, v12
	s_waitcnt lgkmcnt(0)
	v_cmpx_ne_u32_e64 v20, v6
	s_cbranch_execz .LBB40_17
; %bb.23:                               ;   in Loop: Header=BB40_20 Depth=2
	ds_cmpst_rtn_b32 v12, v12, v8, v6
	s_mov_b32 s35, 0
	s_mov_b32 s31, exec_lo
	s_waitcnt lgkmcnt(0)
	v_cmpx_ne_u32_e32 -1, v12
	s_cbranch_execz .LBB40_16
; %bb.24:                               ;   in Loop: Header=BB40_20 Depth=2
	v_add_nc_u32_e32 v10, 2, v11
	s_mov_b32 s36, -1
	s_mov_b32 s35, -1
	s_mov_b32 s33, exec_lo
	v_and_b32_e32 v10, 31, v10
	v_lshl_add_u32 v12, v10, 2, v26
	ds_read_b32 v20, v12
	s_waitcnt lgkmcnt(0)
	v_cmpx_ne_u32_e64 v20, v6
	s_cbranch_execz .LBB40_15
; %bb.25:                               ;   in Loop: Header=BB40_20 Depth=2
	ds_cmpst_rtn_b32 v12, v12, v8, v6
	s_mov_b32 s37, 0
	s_mov_b32 s35, exec_lo
	s_waitcnt lgkmcnt(0)
	v_cmpx_ne_u32_e32 -1, v12
	s_cbranch_execz .LBB40_14
; %bb.26:                               ;   in Loop: Header=BB40_20 Depth=2
	v_add_nc_u32_e32 v10, 3, v11
	s_mov_b32 s38, -1
	s_mov_b32 s37, -1
	v_and_b32_e32 v10, 31, v10
	v_lshl_add_u32 v12, v10, 2, v26
	ds_read_b32 v11, v12
	s_waitcnt lgkmcnt(0)
	v_cmp_ne_u32_e32 vcc_lo, v11, v6
                                        ; implicit-def: $vgpr11
	s_and_saveexec_b32 s36, vcc_lo
	s_cbranch_execz .LBB40_13
; %bb.27:                               ;   in Loop: Header=BB40_20 Depth=2
	ds_cmpst_rtn_b32 v11, v12, v8, v6
	s_mov_b32 s37, 0
	s_waitcnt lgkmcnt(0)
	v_cmp_ne_u32_e32 vcc_lo, -1, v11
                                        ; implicit-def: $vgpr11
	s_and_saveexec_b32 s39, vcc_lo
	s_cbranch_execz .LBB40_12
; %bb.28:                               ;   in Loop: Header=BB40_20 Depth=2
	v_add_nc_u32_e32 v9, -4, v9
	v_add_nc_u32_e32 v11, 1, v10
	s_mov_b32 s37, exec_lo
	v_cmp_eq_u32_e32 vcc_lo, 0, v9
	s_orn2_b32 s38, vcc_lo, exec_lo
	s_branch .LBB40_12
.LBB40_29:                              ;   in Loop: Header=BB40_11 Depth=1
	s_or_b32 exec_lo, exec_lo, s18
	s_xor_b32 s18, s19, -1
	s_and_saveexec_b32 s19, s18
	s_xor_b32 s18, exec_lo, s19
	s_cbranch_execz .LBB40_10
; %bb.30:                               ;   in Loop: Header=BB40_11 Depth=1
	v_lshl_add_u32 v6, v10, 2, v27
	ds_write_b32 v6, v5
	s_branch .LBB40_10
.LBB40_31:
	s_or_b32 exec_lo, exec_lo, s6
	s_mov_b32 s7, exec_lo
	s_waitcnt vmcnt(0) lgkmcnt(0)
	buffer_gl0_inv
	v_cmpx_lt_i32_e64 v19, v18
	s_cbranch_execz .LBB40_61
; %bb.32:
	v_add_nc_u32_e32 v28, 1, v0
	s_mov_b32 s18, 0
	s_branch .LBB40_35
.LBB40_33:                              ;   in Loop: Header=BB40_35 Depth=1
	s_or_b32 exec_lo, exec_lo, s19
	v_add_nc_u32_e32 v19, 1, v19
	v_cmp_ge_i32_e32 vcc_lo, v19, v18
	s_orn2_b32 s19, vcc_lo, exec_lo
.LBB40_34:                              ;   in Loop: Header=BB40_35 Depth=1
	s_or_b32 exec_lo, exec_lo, s6
	s_and_b32 s6, exec_lo, s19
	s_or_b32 s18, s6, s18
	s_andn2_b32 exec_lo, exec_lo, s18
	s_cbranch_execz .LBB40_61
.LBB40_35:                              ; =>This Loop Header: Depth=1
                                        ;     Child Loop BB40_36 Depth 2
                                        ;     Child Loop BB40_41 Depth 2
                                        ;       Child Loop BB40_50 Depth 3
	v_ashrrev_i32_e32 v20, 31, v19
	s_mov_b32 s6, 0
	v_lshlrev_b64 v[5:6], 2, v[19:20]
	v_lshlrev_b64 v[7:8], 4, v[19:20]
	v_add_co_u32 v5, vcc_lo, s10, v5
	v_add_co_ci_u32_e64 v6, null, s11, v6, vcc_lo
	v_add_co_u32 v20, vcc_lo, s12, v7
	v_add_co_ci_u32_e64 v21, null, s13, v8, vcc_lo
	global_load_dword v5, v[5:6], off
	s_waitcnt vmcnt(0)
	v_subrev_nc_u32_e32 v5, s34, v5
	v_ashrrev_i32_e32 v6, 31, v5
	v_lshlrev_b64 v[9:10], 2, v[5:6]
	v_add_co_u32 v11, vcc_lo, s8, v9
	v_add_co_ci_u32_e64 v12, null, s9, v10, vcc_lo
	v_add_co_u32 v22, vcc_lo, s14, v9
	v_add_co_ci_u32_e64 v23, null, s15, v10, vcc_lo
	global_load_dwordx4 v[5:8], v[20:21], off
	global_load_dword v11, v[11:12], off offset:4
	global_load_dword v12, v[22:23], off
	v_add_co_u32 v9, vcc_lo, s16, v9
	v_add_co_ci_u32_e64 v10, null, s17, v10, vcc_lo
.LBB40_36:                              ;   Parent Loop BB40_35 Depth=1
                                        ; =>  This Inner Loop Header: Depth=2
	global_load_dword v22, v[9:10], off glc dlc
	s_waitcnt vmcnt(0)
	v_cmp_ne_u32_e32 vcc_lo, 0, v22
	s_or_b32 s6, vcc_lo, s6
	s_andn2_b32 exec_lo, exec_lo, s6
	s_cbranch_execnz .LBB40_36
; %bb.37:                               ;   in Loop: Header=BB40_35 Depth=1
	s_or_b32 exec_lo, exec_lo, s6
	v_subrev_nc_u32_e32 v29, s34, v11
	v_cmp_eq_u32_e32 vcc_lo, -1, v12
	buffer_gl1_inv
	buffer_gl0_inv
	s_mov_b32 s19, -1
	v_add_nc_u32_e32 v9, -1, v29
	v_cndmask_b32_e32 v22, v12, v9, vcc_lo
	v_ashrrev_i32_e32 v23, 31, v22
	v_lshlrev_b64 v[9:10], 4, v[22:23]
	v_add_co_u32 v9, vcc_lo, s12, v9
	v_add_co_ci_u32_e64 v10, null, s13, v10, vcc_lo
	global_load_dwordx4 v[9:12], v[9:10], off
	s_waitcnt vmcnt(0)
	v_cmp_neq_f64_e32 vcc_lo, 0, v[9:10]
	v_cmp_neq_f64_e64 s6, 0, v[11:12]
	s_or_b32 s26, vcc_lo, s6
	s_and_saveexec_b32 s6, s26
	s_cbranch_execz .LBB40_34
; %bb.38:                               ;   in Loop: Header=BB40_35 Depth=1
	v_mul_f64 v[30:31], v[11:12], v[11:12]
	s_mov_b32 s19, exec_lo
	v_fma_f64 v[30:31], v[9:10], v[9:10], v[30:31]
	v_div_scale_f64 v[32:33], null, v[30:31], v[30:31], 1.0
	v_div_scale_f64 v[38:39], vcc_lo, 1.0, v[30:31], 1.0
	v_rcp_f64_e32 v[34:35], v[32:33]
	v_fma_f64 v[36:37], -v[32:33], v[34:35], 1.0
	v_fma_f64 v[34:35], v[34:35], v[36:37], v[34:35]
	v_fma_f64 v[36:37], -v[32:33], v[34:35], 1.0
	v_fma_f64 v[34:35], v[34:35], v[36:37], v[34:35]
	v_mul_f64 v[36:37], v[38:39], v[34:35]
	v_fma_f64 v[32:33], -v[32:33], v[36:37], v[38:39]
	v_mul_f64 v[38:39], v[7:8], v[11:12]
	v_mul_f64 v[11:12], v[11:12], -v[5:6]
	v_div_fmas_f64 v[32:33], v[32:33], v[34:35], v[36:37]
	v_fma_f64 v[5:6], v[5:6], v[9:10], v[38:39]
	v_fma_f64 v[7:8], v[7:8], v[9:10], v[11:12]
	v_add_nc_u32_e32 v9, v28, v22
	v_div_fixup_f64 v[30:31], v[32:33], v[30:31], 1.0
	v_mul_f64 v[5:6], v[5:6], v[30:31]
	v_mul_f64 v[7:8], v[7:8], v[30:31]
	global_store_dwordx4 v[20:21], v[5:8], off
	v_cmpx_lt_i32_e64 v9, v29
	s_cbranch_execz .LBB40_33
; %bb.39:                               ;   in Loop: Header=BB40_35 Depth=1
	s_mov_b32 s26, 0
	s_branch .LBB40_41
.LBB40_40:                              ;   in Loop: Header=BB40_41 Depth=2
	s_or_b32 exec_lo, exec_lo, s27
	v_add_nc_u32_e32 v9, 32, v9
	v_cmp_ge_i32_e32 vcc_lo, v9, v29
	s_or_b32 s26, vcc_lo, s26
	s_andn2_b32 exec_lo, exec_lo, s26
	s_cbranch_execz .LBB40_33
.LBB40_41:                              ;   Parent Loop BB40_35 Depth=1
                                        ; =>  This Loop Header: Depth=2
                                        ;       Child Loop BB40_50 Depth 3
	v_ashrrev_i32_e32 v10, 31, v9
	s_mov_b32 s27, 0
                                        ; implicit-def: $sgpr28
                                        ; implicit-def: $sgpr29
                                        ; implicit-def: $sgpr30
	v_lshlrev_b64 v[11:12], 2, v[9:10]
	v_add_co_u32 v11, vcc_lo, s10, v11
	v_add_co_ci_u32_e64 v12, null, s11, v12, vcc_lo
	global_load_dword v11, v[11:12], off
	v_mov_b32_e32 v12, 32
	s_waitcnt vmcnt(0)
	v_mul_lo_u32 v21, v11, 7
	s_branch .LBB40_50
.LBB40_42:                              ;   in Loop: Header=BB40_50 Depth=3
	s_or_b32 exec_lo, exec_lo, s42
	s_orn2_b32 s40, s40, exec_lo
	s_orn2_b32 s41, s41, exec_lo
.LBB40_43:                              ;   in Loop: Header=BB40_50 Depth=3
	s_or_b32 exec_lo, exec_lo, s39
	s_and_b32 s40, s40, exec_lo
	s_orn2_b32 s39, s41, exec_lo
.LBB40_44:                              ;   in Loop: Header=BB40_50 Depth=3
	s_or_b32 exec_lo, exec_lo, s38
	s_orn2_b32 s38, s40, exec_lo
	s_orn2_b32 s39, s39, exec_lo
.LBB40_45:                              ;   in Loop: Header=BB40_50 Depth=3
	s_or_b32 exec_lo, exec_lo, s37
	s_and_b32 s38, s38, exec_lo
	s_orn2_b32 s37, s39, exec_lo
.LBB40_46:                              ;   in Loop: Header=BB40_50 Depth=3
	s_or_b32 exec_lo, exec_lo, s36
	s_orn2_b32 s36, s38, exec_lo
	s_orn2_b32 s37, s37, exec_lo
.LBB40_47:                              ;   in Loop: Header=BB40_50 Depth=3
	s_or_b32 exec_lo, exec_lo, s35
	s_and_b32 s36, s36, exec_lo
	s_orn2_b32 s35, s37, exec_lo
.LBB40_48:                              ;   in Loop: Header=BB40_50 Depth=3
	s_or_b32 exec_lo, exec_lo, s33
	s_andn2_b32 s30, s30, exec_lo
	s_and_b32 s33, s36, exec_lo
	s_andn2_b32 s29, s29, exec_lo
	s_and_b32 s35, s35, exec_lo
	s_or_b32 s30, s30, s33
	s_or_b32 s29, s29, s35
.LBB40_49:                              ;   in Loop: Header=BB40_50 Depth=3
	s_or_b32 exec_lo, exec_lo, s31
	s_and_b32 s31, exec_lo, s29
	s_or_b32 s27, s31, s27
	s_andn2_b32 s28, s28, exec_lo
	s_and_b32 s31, s30, exec_lo
	s_or_b32 s28, s28, s31
	s_andn2_b32 exec_lo, exec_lo, s27
	s_cbranch_execz .LBB40_59
.LBB40_50:                              ;   Parent Loop BB40_35 Depth=1
                                        ;     Parent Loop BB40_41 Depth=2
                                        ; =>    This Inner Loop Header: Depth=3
	v_and_b32_e32 v20, 31, v21
	s_or_b32 s30, s30, exec_lo
	s_or_b32 s29, s29, exec_lo
	s_mov_b32 s31, exec_lo
	v_lshl_add_u32 v22, v20, 2, v26
	ds_read_b32 v22, v22
	s_waitcnt lgkmcnt(0)
	v_cmpx_ne_u32_e32 -1, v22
	s_cbranch_execz .LBB40_49
; %bb.51:                               ;   in Loop: Header=BB40_50 Depth=3
	s_mov_b32 s35, -1
	s_mov_b32 s36, 0
	s_mov_b32 s33, exec_lo
	v_cmpx_ne_u32_e64 v22, v11
	s_cbranch_execz .LBB40_48
; %bb.52:                               ;   in Loop: Header=BB40_50 Depth=3
	v_add_nc_u32_e32 v20, 1, v21
	s_mov_b32 s37, -1
	s_mov_b32 s36, -1
	s_mov_b32 s35, exec_lo
	v_and_b32_e32 v20, 31, v20
	v_lshl_add_u32 v22, v20, 2, v26
	ds_read_b32 v22, v22
	s_waitcnt lgkmcnt(0)
	v_cmpx_ne_u32_e32 -1, v22
	s_cbranch_execz .LBB40_47
; %bb.53:                               ;   in Loop: Header=BB40_50 Depth=3
	s_mov_b32 s38, 0
	s_mov_b32 s36, exec_lo
	v_cmpx_ne_u32_e64 v22, v11
	s_cbranch_execz .LBB40_46
; %bb.54:                               ;   in Loop: Header=BB40_50 Depth=3
	v_add_nc_u32_e32 v20, 2, v21
	s_mov_b32 s39, -1
	s_mov_b32 s38, -1
	s_mov_b32 s37, exec_lo
	v_and_b32_e32 v20, 31, v20
	v_lshl_add_u32 v22, v20, 2, v26
	ds_read_b32 v22, v22
	s_waitcnt lgkmcnt(0)
	v_cmpx_ne_u32_e32 -1, v22
	s_cbranch_execz .LBB40_45
; %bb.55:                               ;   in Loop: Header=BB40_50 Depth=3
	s_mov_b32 s40, 0
	s_mov_b32 s38, exec_lo
	v_cmpx_ne_u32_e64 v22, v11
	s_cbranch_execz .LBB40_44
; %bb.56:                               ;   in Loop: Header=BB40_50 Depth=3
	v_add_nc_u32_e32 v20, 3, v21
	s_mov_b32 s41, -1
	s_mov_b32 s40, -1
	s_mov_b32 s39, exec_lo
	v_and_b32_e32 v20, 31, v20
	v_lshl_add_u32 v21, v20, 2, v26
	ds_read_b32 v22, v21
                                        ; implicit-def: $vgpr21
	s_waitcnt lgkmcnt(0)
	v_cmpx_ne_u32_e32 -1, v22
	s_cbranch_execz .LBB40_43
; %bb.57:                               ;   in Loop: Header=BB40_50 Depth=3
	s_mov_b32 s40, 0
	s_mov_b32 s42, exec_lo
                                        ; implicit-def: $vgpr21
	v_cmpx_ne_u32_e64 v22, v11
	s_cbranch_execz .LBB40_42
; %bb.58:                               ;   in Loop: Header=BB40_50 Depth=3
	v_add_nc_u32_e32 v12, -4, v12
	v_add_nc_u32_e32 v21, 1, v20
	s_mov_b32 s40, exec_lo
	v_cmp_eq_u32_e32 vcc_lo, 0, v12
	s_orn2_b32 s41, vcc_lo, exec_lo
	s_branch .LBB40_42
.LBB40_59:                              ;   in Loop: Header=BB40_41 Depth=2
	s_or_b32 exec_lo, exec_lo, s27
	s_xor_b32 s27, s28, -1
	s_and_saveexec_b32 s28, s27
	s_xor_b32 s27, exec_lo, s28
	s_cbranch_execz .LBB40_40
; %bb.60:                               ;   in Loop: Header=BB40_41 Depth=2
	v_lshl_add_u32 v11, v20, 2, v27
	v_lshlrev_b64 v[20:21], 4, v[9:10]
	ds_read_b32 v11, v11
	v_add_co_u32 v20, vcc_lo, s12, v20
	v_add_co_ci_u32_e64 v21, null, s13, v21, vcc_lo
	s_waitcnt lgkmcnt(0)
	v_ashrrev_i32_e32 v12, 31, v11
	v_lshlrev_b64 v[10:11], 4, v[11:12]
	v_add_co_u32 v10, vcc_lo, s12, v10
	v_add_co_ci_u32_e64 v11, null, s13, v11, vcc_lo
	s_clause 0x1
	global_load_dwordx4 v[20:23], v[20:21], off
	global_load_dwordx4 v[30:33], v[10:11], off
	s_waitcnt vmcnt(0)
	v_fma_f64 v[30:31], -v[5:6], v[20:21], v[30:31]
	v_fma_f64 v[32:33], -v[7:8], v[20:21], v[32:33]
	v_fma_f64 v[20:21], v[7:8], v[22:23], v[30:31]
	v_fma_f64 v[22:23], -v[5:6], v[22:23], v[32:33]
	global_store_dwordx4 v[10:11], v[20:23], off
	s_branch .LBB40_40
.LBB40_61:
	s_or_b32 exec_lo, exec_lo, s7
	s_mov_b32 s7, exec_lo
	s_waitcnt_vscnt null, 0x0
	buffer_gl0_inv
	v_cmpx_lt_i32_e32 -1, v18
	s_cbranch_execz .LBB40_83
; %bb.62:
	v_mov_b32_e32 v19, 0
	s_mov_b32 s6, exec_lo
	v_lshlrev_b64 v[5:6], 4, v[18:19]
	v_add_co_u32 v9, vcc_lo, s12, v5
	v_add_co_ci_u32_e64 v10, null, s13, v6, vcc_lo
	global_load_dwordx4 v[5:8], v[9:10], off
	s_waitcnt vmcnt(0)
	v_cmp_gt_f64_e32 vcc_lo, 0, v[5:6]
	v_xor_b32_e32 v12, 0x80000000, v6
	v_xor_b32_e32 v18, 0x80000000, v8
	v_mov_b32_e32 v11, v5
	v_mov_b32_e32 v20, v7
	v_cndmask_b32_e32 v12, v6, v12, vcc_lo
	v_cmp_gt_f64_e32 vcc_lo, 0, v[7:8]
	v_cndmask_b32_e32 v21, v8, v18, vcc_lo
                                        ; implicit-def: $vgpr18_vgpr19
	v_cmpx_ngt_f64_e32 v[11:12], v[20:21]
	s_xor_b32 s6, exec_lo, s6
	s_cbranch_execz .LBB40_66
; %bb.63:
	v_mov_b32_e32 v18, 0
	v_mov_b32_e32 v19, 0
	s_mov_b32 s8, exec_lo
	v_cmpx_neq_f64_e32 0, v[7:8]
	s_cbranch_execz .LBB40_65
; %bb.64:
	v_div_scale_f64 v[18:19], null, v[20:21], v[20:21], v[11:12]
	v_div_scale_f64 v[28:29], vcc_lo, v[11:12], v[20:21], v[11:12]
	v_rcp_f64_e32 v[22:23], v[18:19]
	v_fma_f64 v[26:27], -v[18:19], v[22:23], 1.0
	v_fma_f64 v[22:23], v[22:23], v[26:27], v[22:23]
	v_fma_f64 v[26:27], -v[18:19], v[22:23], 1.0
	v_fma_f64 v[22:23], v[22:23], v[26:27], v[22:23]
	v_mul_f64 v[26:27], v[28:29], v[22:23]
	v_fma_f64 v[18:19], -v[18:19], v[26:27], v[28:29]
	v_div_fmas_f64 v[18:19], v[18:19], v[22:23], v[26:27]
	v_div_fixup_f64 v[11:12], v[18:19], v[20:21], v[11:12]
	v_fma_f64 v[11:12], v[11:12], v[11:12], 1.0
	v_cmp_gt_f64_e32 vcc_lo, 0x10000000, v[11:12]
	v_cndmask_b32_e64 v18, 0, 0x100, vcc_lo
	v_ldexp_f64 v[11:12], v[11:12], v18
	v_rsq_f64_e32 v[18:19], v[11:12]
	v_mul_f64 v[22:23], v[11:12], v[18:19]
	v_mul_f64 v[18:19], v[18:19], 0.5
	v_fma_f64 v[26:27], -v[18:19], v[22:23], 0.5
	v_fma_f64 v[22:23], v[22:23], v[26:27], v[22:23]
	v_fma_f64 v[18:19], v[18:19], v[26:27], v[18:19]
	v_fma_f64 v[26:27], -v[22:23], v[22:23], v[11:12]
	v_fma_f64 v[22:23], v[26:27], v[18:19], v[22:23]
	v_fma_f64 v[26:27], -v[22:23], v[22:23], v[11:12]
	v_fma_f64 v[18:19], v[26:27], v[18:19], v[22:23]
	v_cndmask_b32_e64 v22, 0, 0xffffff80, vcc_lo
	v_cmp_class_f64_e64 vcc_lo, v[11:12], 0x260
	v_ldexp_f64 v[18:19], v[18:19], v22
	v_cndmask_b32_e32 v12, v19, v12, vcc_lo
	v_cndmask_b32_e32 v11, v18, v11, vcc_lo
	v_mul_f64 v[18:19], v[20:21], v[11:12]
.LBB40_65:
	s_or_b32 exec_lo, exec_lo, s8
                                        ; implicit-def: $vgpr11_vgpr12
                                        ; implicit-def: $vgpr20_vgpr21
.LBB40_66:
	s_andn2_saveexec_b32 s6, s6
	s_cbranch_execz .LBB40_68
; %bb.67:
	v_div_scale_f64 v[18:19], null, v[11:12], v[11:12], v[20:21]
	v_div_scale_f64 v[28:29], vcc_lo, v[20:21], v[11:12], v[20:21]
	v_rcp_f64_e32 v[22:23], v[18:19]
	v_fma_f64 v[26:27], -v[18:19], v[22:23], 1.0
	v_fma_f64 v[22:23], v[22:23], v[26:27], v[22:23]
	v_fma_f64 v[26:27], -v[18:19], v[22:23], 1.0
	v_fma_f64 v[22:23], v[22:23], v[26:27], v[22:23]
	v_mul_f64 v[26:27], v[28:29], v[22:23]
	v_fma_f64 v[18:19], -v[18:19], v[26:27], v[28:29]
	v_div_fmas_f64 v[18:19], v[18:19], v[22:23], v[26:27]
	v_div_fixup_f64 v[18:19], v[18:19], v[11:12], v[20:21]
	v_fma_f64 v[18:19], v[18:19], v[18:19], 1.0
	v_cmp_gt_f64_e32 vcc_lo, 0x10000000, v[18:19]
	v_cndmask_b32_e64 v20, 0, 0x100, vcc_lo
	v_ldexp_f64 v[18:19], v[18:19], v20
	v_rsq_f64_e32 v[20:21], v[18:19]
	v_mul_f64 v[22:23], v[18:19], v[20:21]
	v_mul_f64 v[20:21], v[20:21], 0.5
	v_fma_f64 v[26:27], -v[20:21], v[22:23], 0.5
	v_fma_f64 v[22:23], v[22:23], v[26:27], v[22:23]
	v_fma_f64 v[20:21], v[20:21], v[26:27], v[20:21]
	v_fma_f64 v[26:27], -v[22:23], v[22:23], v[18:19]
	v_fma_f64 v[22:23], v[26:27], v[20:21], v[22:23]
	v_fma_f64 v[26:27], -v[22:23], v[22:23], v[18:19]
	v_fma_f64 v[20:21], v[26:27], v[20:21], v[22:23]
	v_cndmask_b32_e64 v22, 0, 0xffffff80, vcc_lo
	v_cmp_class_f64_e64 vcc_lo, v[18:19], 0x260
	v_ldexp_f64 v[20:21], v[20:21], v22
	v_cndmask_b32_e32 v19, v21, v19, vcc_lo
	v_cndmask_b32_e32 v18, v20, v18, vcc_lo
	v_mul_f64 v[18:19], v[11:12], v[18:19]
.LBB40_68:
	s_or_b32 exec_lo, exec_lo, s6
	v_cmp_ne_u32_e32 vcc_lo, 1, v25
	v_cmp_eq_u32_e64 s6, 0, v0
	s_mov_b32 s8, -1
	s_cbranch_vccnz .LBB40_72
; %bb.69:
	v_cvt_f64_f32_e32 v[11:12], v24
	s_cmp_eq_u64 s[24:25], 8
	s_cselect_b32 vcc_lo, -1, 0
	v_cndmask_b32_e32 v12, v12, v16, vcc_lo
	v_cndmask_b32_e32 v11, v11, v15, vcc_lo
	v_cmp_le_f64_e32 vcc_lo, v[18:19], v[11:12]
	s_and_b32 s9, s6, vcc_lo
	s_and_saveexec_b32 s8, s9
	s_cbranch_execz .LBB40_71
; %bb.70:
	global_store_dwordx4 v[9:10], v[1:4], off
	s_waitcnt_vscnt null, 0x0
	buffer_gl1_inv
	buffer_gl0_inv
.LBB40_71:
	s_or_b32 exec_lo, exec_lo, s8
	s_mov_b32 s8, 0
.LBB40_72:
	s_andn2_b32 vcc_lo, exec_lo, s8
	s_cbranch_vccnz .LBB40_83
; %bb.73:
	s_load_dwordx2 s[4:5], s[4:5], 0x48
	v_add_nc_u32_e32 v1, s34, v17
	s_waitcnt lgkmcnt(0)
	v_cmp_ge_f64_e32 vcc_lo, s[4:5], v[18:19]
	s_and_b32 s5, s6, vcc_lo
	s_and_saveexec_b32 s4, s5
	s_cbranch_execz .LBB40_78
; %bb.74:
	s_mov_b32 s8, exec_lo
	s_brev_b32 s5, -2
.LBB40_75:                              ; =>This Inner Loop Header: Depth=1
	s_ff1_i32_b32 s9, s8
	v_readlane_b32 s10, v1, s9
	s_lshl_b32 s9, 1, s9
	s_andn2_b32 s8, s8, s9
	s_min_i32 s5, s5, s10
	s_cmp_lg_u32 s8, 0
	s_cbranch_scc1 .LBB40_75
; %bb.76:
	v_mbcnt_lo_u32_b32 v2, exec_lo, 0
	s_mov_b32 s8, exec_lo
	v_cmpx_eq_u32_e32 0, v2
	s_xor_b32 s8, exec_lo, s8
	s_cbranch_execz .LBB40_78
; %bb.77:
	v_mov_b32_e32 v2, 0
	v_mov_b32_e32 v3, s5
	global_atomic_smin v2, v3, s[22:23]
.LBB40_78:
	s_or_b32 exec_lo, exec_lo, s4
	v_cmp_eq_f64_e32 vcc_lo, 0, v[5:6]
	v_cmp_eq_f64_e64 s4, 0, v[7:8]
	s_and_b32 s4, vcc_lo, s4
	s_and_b32 s4, s6, s4
	s_and_b32 exec_lo, exec_lo, s4
	s_cbranch_execz .LBB40_83
; %bb.79:
	s_mov_b32 s5, exec_lo
	s_brev_b32 s4, -2
.LBB40_80:                              ; =>This Inner Loop Header: Depth=1
	s_ff1_i32_b32 s6, s5
	v_readlane_b32 s8, v1, s6
	s_lshl_b32 s6, 1, s6
	s_andn2_b32 s5, s5, s6
	s_min_i32 s4, s4, s8
	s_cmp_lg_u32 s5, 0
	s_cbranch_scc1 .LBB40_80
; %bb.81:
	v_mbcnt_lo_u32_b32 v1, exec_lo, 0
	s_mov_b32 s5, exec_lo
	v_cmpx_eq_u32_e32 0, v1
	s_xor_b32 s5, exec_lo, s5
	s_cbranch_execz .LBB40_83
; %bb.82:
	v_mov_b32_e32 v1, 0
	v_mov_b32_e32 v2, s4
	global_atomic_smin v1, v2, s[20:21]
.LBB40_83:
	s_or_b32 exec_lo, exec_lo, s7
	v_cmp_eq_u32_e32 vcc_lo, 0, v0
	s_waitcnt_vscnt null, 0x0
	buffer_gl1_inv
	buffer_gl0_inv
	s_and_b32 exec_lo, exec_lo, vcc_lo
	s_cbranch_execz .LBB40_85
; %bb.84:
	v_add_co_u32 v0, vcc_lo, s16, v13
	v_add_co_ci_u32_e64 v1, null, s17, v14, vcc_lo
	v_mov_b32_e32 v2, 1
	global_store_dword v[0:1], v2, off
.LBB40_85:
	s_endpgm
	.section	.rodata,"a",@progbits
	.p2align	6, 0x0
	.amdhsa_kernel _ZN9rocsparseL12csrilu0_hashILj256ELj32ELj1E21rocsparse_complex_numIdEEEviPKiS4_PT2_S4_PiS4_S7_S7_d21rocsparse_index_base_imNS_24const_host_device_scalarIfEENS9_IdEENS9_IS5_EEb
		.amdhsa_group_segment_fixed_size 2048
		.amdhsa_private_segment_fixed_size 16
		.amdhsa_kernarg_size 132
		.amdhsa_user_sgpr_count 8
		.amdhsa_user_sgpr_private_segment_buffer 1
		.amdhsa_user_sgpr_dispatch_ptr 0
		.amdhsa_user_sgpr_queue_ptr 0
		.amdhsa_user_sgpr_kernarg_segment_ptr 1
		.amdhsa_user_sgpr_dispatch_id 0
		.amdhsa_user_sgpr_flat_scratch_init 1
		.amdhsa_user_sgpr_private_segment_size 0
		.amdhsa_wavefront_size32 1
		.amdhsa_uses_dynamic_stack 0
		.amdhsa_system_sgpr_private_segment_wavefront_offset 1
		.amdhsa_system_sgpr_workgroup_id_x 1
		.amdhsa_system_sgpr_workgroup_id_y 0
		.amdhsa_system_sgpr_workgroup_id_z 0
		.amdhsa_system_sgpr_workgroup_info 0
		.amdhsa_system_vgpr_workitem_id 0
		.amdhsa_next_free_vgpr 40
		.amdhsa_next_free_sgpr 43
		.amdhsa_reserve_vcc 1
		.amdhsa_reserve_flat_scratch 1
		.amdhsa_float_round_mode_32 0
		.amdhsa_float_round_mode_16_64 0
		.amdhsa_float_denorm_mode_32 3
		.amdhsa_float_denorm_mode_16_64 3
		.amdhsa_dx10_clamp 1
		.amdhsa_ieee_mode 1
		.amdhsa_fp16_overflow 0
		.amdhsa_workgroup_processor_mode 1
		.amdhsa_memory_ordered 1
		.amdhsa_forward_progress 1
		.amdhsa_shared_vgpr_count 0
		.amdhsa_exception_fp_ieee_invalid_op 0
		.amdhsa_exception_fp_denorm_src 0
		.amdhsa_exception_fp_ieee_div_zero 0
		.amdhsa_exception_fp_ieee_overflow 0
		.amdhsa_exception_fp_ieee_underflow 0
		.amdhsa_exception_fp_ieee_inexact 0
		.amdhsa_exception_int_div_zero 0
	.end_amdhsa_kernel
	.section	.text._ZN9rocsparseL12csrilu0_hashILj256ELj32ELj1E21rocsparse_complex_numIdEEEviPKiS4_PT2_S4_PiS4_S7_S7_d21rocsparse_index_base_imNS_24const_host_device_scalarIfEENS9_IdEENS9_IS5_EEb,"axG",@progbits,_ZN9rocsparseL12csrilu0_hashILj256ELj32ELj1E21rocsparse_complex_numIdEEEviPKiS4_PT2_S4_PiS4_S7_S7_d21rocsparse_index_base_imNS_24const_host_device_scalarIfEENS9_IdEENS9_IS5_EEb,comdat
.Lfunc_end40:
	.size	_ZN9rocsparseL12csrilu0_hashILj256ELj32ELj1E21rocsparse_complex_numIdEEEviPKiS4_PT2_S4_PiS4_S7_S7_d21rocsparse_index_base_imNS_24const_host_device_scalarIfEENS9_IdEENS9_IS5_EEb, .Lfunc_end40-_ZN9rocsparseL12csrilu0_hashILj256ELj32ELj1E21rocsparse_complex_numIdEEEviPKiS4_PT2_S4_PiS4_S7_S7_d21rocsparse_index_base_imNS_24const_host_device_scalarIfEENS9_IdEENS9_IS5_EEb
                                        ; -- End function
	.set _ZN9rocsparseL12csrilu0_hashILj256ELj32ELj1E21rocsparse_complex_numIdEEEviPKiS4_PT2_S4_PiS4_S7_S7_d21rocsparse_index_base_imNS_24const_host_device_scalarIfEENS9_IdEENS9_IS5_EEb.num_vgpr, 40
	.set _ZN9rocsparseL12csrilu0_hashILj256ELj32ELj1E21rocsparse_complex_numIdEEEviPKiS4_PT2_S4_PiS4_S7_S7_d21rocsparse_index_base_imNS_24const_host_device_scalarIfEENS9_IdEENS9_IS5_EEb.num_agpr, 0
	.set _ZN9rocsparseL12csrilu0_hashILj256ELj32ELj1E21rocsparse_complex_numIdEEEviPKiS4_PT2_S4_PiS4_S7_S7_d21rocsparse_index_base_imNS_24const_host_device_scalarIfEENS9_IdEENS9_IS5_EEb.numbered_sgpr, 43
	.set _ZN9rocsparseL12csrilu0_hashILj256ELj32ELj1E21rocsparse_complex_numIdEEEviPKiS4_PT2_S4_PiS4_S7_S7_d21rocsparse_index_base_imNS_24const_host_device_scalarIfEENS9_IdEENS9_IS5_EEb.num_named_barrier, 0
	.set _ZN9rocsparseL12csrilu0_hashILj256ELj32ELj1E21rocsparse_complex_numIdEEEviPKiS4_PT2_S4_PiS4_S7_S7_d21rocsparse_index_base_imNS_24const_host_device_scalarIfEENS9_IdEENS9_IS5_EEb.private_seg_size, 16
	.set _ZN9rocsparseL12csrilu0_hashILj256ELj32ELj1E21rocsparse_complex_numIdEEEviPKiS4_PT2_S4_PiS4_S7_S7_d21rocsparse_index_base_imNS_24const_host_device_scalarIfEENS9_IdEENS9_IS5_EEb.uses_vcc, 1
	.set _ZN9rocsparseL12csrilu0_hashILj256ELj32ELj1E21rocsparse_complex_numIdEEEviPKiS4_PT2_S4_PiS4_S7_S7_d21rocsparse_index_base_imNS_24const_host_device_scalarIfEENS9_IdEENS9_IS5_EEb.uses_flat_scratch, 1
	.set _ZN9rocsparseL12csrilu0_hashILj256ELj32ELj1E21rocsparse_complex_numIdEEEviPKiS4_PT2_S4_PiS4_S7_S7_d21rocsparse_index_base_imNS_24const_host_device_scalarIfEENS9_IdEENS9_IS5_EEb.has_dyn_sized_stack, 0
	.set _ZN9rocsparseL12csrilu0_hashILj256ELj32ELj1E21rocsparse_complex_numIdEEEviPKiS4_PT2_S4_PiS4_S7_S7_d21rocsparse_index_base_imNS_24const_host_device_scalarIfEENS9_IdEENS9_IS5_EEb.has_recursion, 0
	.set _ZN9rocsparseL12csrilu0_hashILj256ELj32ELj1E21rocsparse_complex_numIdEEEviPKiS4_PT2_S4_PiS4_S7_S7_d21rocsparse_index_base_imNS_24const_host_device_scalarIfEENS9_IdEENS9_IS5_EEb.has_indirect_call, 0
	.section	.AMDGPU.csdata,"",@progbits
; Kernel info:
; codeLenInByte = 3416
; TotalNumSgprs: 45
; NumVgprs: 40
; ScratchSize: 16
; MemoryBound: 0
; FloatMode: 240
; IeeeMode: 1
; LDSByteSize: 2048 bytes/workgroup (compile time only)
; SGPRBlocks: 0
; VGPRBlocks: 4
; NumSGPRsForWavesPerEU: 45
; NumVGPRsForWavesPerEU: 40
; Occupancy: 16
; WaveLimiterHint : 1
; COMPUTE_PGM_RSRC2:SCRATCH_EN: 1
; COMPUTE_PGM_RSRC2:USER_SGPR: 8
; COMPUTE_PGM_RSRC2:TRAP_HANDLER: 0
; COMPUTE_PGM_RSRC2:TGID_X_EN: 1
; COMPUTE_PGM_RSRC2:TGID_Y_EN: 0
; COMPUTE_PGM_RSRC2:TGID_Z_EN: 0
; COMPUTE_PGM_RSRC2:TIDIG_COMP_CNT: 0
	.section	.text._ZN9rocsparseL12csrilu0_hashILj256ELj32ELj2E21rocsparse_complex_numIdEEEviPKiS4_PT2_S4_PiS4_S7_S7_d21rocsparse_index_base_imNS_24const_host_device_scalarIfEENS9_IdEENS9_IS5_EEb,"axG",@progbits,_ZN9rocsparseL12csrilu0_hashILj256ELj32ELj2E21rocsparse_complex_numIdEEEviPKiS4_PT2_S4_PiS4_S7_S7_d21rocsparse_index_base_imNS_24const_host_device_scalarIfEENS9_IdEENS9_IS5_EEb,comdat
	.globl	_ZN9rocsparseL12csrilu0_hashILj256ELj32ELj2E21rocsparse_complex_numIdEEEviPKiS4_PT2_S4_PiS4_S7_S7_d21rocsparse_index_base_imNS_24const_host_device_scalarIfEENS9_IdEENS9_IS5_EEb ; -- Begin function _ZN9rocsparseL12csrilu0_hashILj256ELj32ELj2E21rocsparse_complex_numIdEEEviPKiS4_PT2_S4_PiS4_S7_S7_d21rocsparse_index_base_imNS_24const_host_device_scalarIfEENS9_IdEENS9_IS5_EEb
	.p2align	8
	.type	_ZN9rocsparseL12csrilu0_hashILj256ELj32ELj2E21rocsparse_complex_numIdEEEviPKiS4_PT2_S4_PiS4_S7_S7_d21rocsparse_index_base_imNS_24const_host_device_scalarIfEENS9_IdEENS9_IS5_EEb,@function
_ZN9rocsparseL12csrilu0_hashILj256ELj32ELj2E21rocsparse_complex_numIdEEEviPKiS4_PT2_S4_PiS4_S7_S7_d21rocsparse_index_base_imNS_24const_host_device_scalarIfEENS9_IdEENS9_IS5_EEb: ; @_ZN9rocsparseL12csrilu0_hashILj256ELj32ELj2E21rocsparse_complex_numIdEEEviPKiS4_PT2_S4_PiS4_S7_S7_d21rocsparse_index_base_imNS_24const_host_device_scalarIfEENS9_IdEENS9_IS5_EEb
; %bb.0:
	s_add_u32 s6, s6, s9
	s_addc_u32 s7, s7, 0
	s_setreg_b32 hwreg(HW_REG_FLAT_SCR_LO), s6
	s_setreg_b32 hwreg(HW_REG_FLAT_SCR_HI), s7
	s_add_u32 s0, s0, s9
	s_clause 0x3
	s_load_dword s9, s[4:5], 0x80
	s_load_dwordx2 s[34:35], s[4:5], 0x50
	s_load_dwordx8 s[24:31], s[4:5], 0x58
	s_load_dwordx2 s[6:7], s[4:5], 0x78
	s_addc_u32 s1, s1, 0
	s_waitcnt lgkmcnt(0)
	s_bitcmp1_b32 s9, 0
	s_cselect_b32 s9, -1, 0
	s_cmp_eq_u32 s35, 0
	v_mov_b32_e32 v1, s31
	s_cselect_b32 s14, -1, 0
	s_cmp_lg_u32 s35, 0
	v_mov_b32_e32 v2, s30
	s_cselect_b32 s12, -1, 0
	s_or_b32 s15, s14, s9
	buffer_store_dword v1, off, s[0:3], 0 offset:4
	s_xor_b32 s13, s15, -1
	s_and_b32 s10, s14, exec_lo
	s_cselect_b32 s11, 0, s29
	s_cselect_b32 s10, 0, s28
	s_and_b32 vcc_lo, exec_lo, s15
	buffer_store_dword v2, off, s[0:3], 0
	s_cbranch_vccnz .LBB41_2
; %bb.1:
	s_load_dword s10, s[26:27], 0x0
	s_waitcnt lgkmcnt(0)
	v_mov_b32_e32 v25, s10
	s_mov_b64 s[10:11], s[28:29]
	v_mov_b32_e32 v16, s11
	v_mov_b32_e32 v15, s10
	s_andn2_b32 vcc_lo, exec_lo, s13
	s_cbranch_vccz .LBB41_3
	s_branch .LBB41_4
.LBB41_2:
	v_cndmask_b32_e64 v25, s26, 0, s14
	v_mov_b32_e32 v16, s11
	v_mov_b32_e32 v15, s10
	s_andn2_b32 vcc_lo, exec_lo, s13
	s_cbranch_vccnz .LBB41_4
.LBB41_3:
	v_mov_b32_e32 v1, s28
	v_mov_b32_e32 v2, s29
	flat_load_dwordx2 v[15:16], v[1:2]
.LBB41_4:
	v_mov_b32_e32 v3, 0
	v_mov_b32_e32 v1, 0
	v_cndmask_b32_e64 v26, 0, 1, s12
	v_mov_b32_e32 v4, 0
	v_mov_b32_e32 v2, 0
	s_andn2_b32 vcc_lo, exec_lo, s12
	s_cbranch_vccnz .LBB41_7
; %bb.5:
	s_mov_b64 s[10:11], src_private_base
	s_xor_b32 s10, s9, -1
	s_and_b32 s9, s9, exec_lo
	s_cselect_b32 s9, 0, s30
	s_cselect_b32 s11, s11, s31
	v_mov_b32_e32 v1, s9
	v_mov_b32_e32 v2, s11
	v_mov_b32_e32 v3, s6
	v_mov_b32_e32 v4, s7
	s_andn2_b32 vcc_lo, exec_lo, s10
	flat_load_dwordx2 v[1:2], v[1:2]
	s_cbranch_vccnz .LBB41_7
; %bb.6:
	v_mov_b32_e32 v3, s30
	v_mov_b32_e32 v4, s31
	flat_load_dwordx2 v[3:4], v[3:4] offset:8
.LBB41_7:
	v_lshrrev_b32_e32 v5, 5, v0
	v_and_b32_e32 v24, 31, v0
	s_mov_b32 s6, 0
	v_lshlrev_b32_e32 v7, 8, v5
	v_lshlrev_b32_e32 v8, 2, v24
	v_or_b32_e32 v6, 0xffffffe0, v24
	v_or3_b32 v7, v7, v8, 0x800
	v_mov_b32_e32 v8, -1
.LBB41_8:                               ; =>This Inner Loop Header: Depth=1
	v_add_co_u32 v6, s7, v6, 32
	s_xor_b32 s7, s7, -1
	ds_write_b32 v7, v8
	v_add_nc_u32_e32 v7, 0x80, v7
	s_and_b32 s7, exec_lo, s7
	s_or_b32 s6, s7, s6
	s_andn2_b32 exec_lo, exec_lo, s6
	s_cbranch_execnz .LBB41_8
; %bb.9:
	s_or_b32 exec_lo, exec_lo, s6
	s_load_dword s6, s[4:5], 0x0
	s_lshl_b32 s7, s8, 3
	s_waitcnt vmcnt(0) lgkmcnt(0)
	s_waitcnt_vscnt null, 0x0
	buffer_gl0_inv
	v_and_or_b32 v5, 0x7fffff8, s7, v5
	v_cmp_gt_i32_e32 vcc_lo, s6, v5
	s_and_saveexec_b32 s6, vcc_lo
	s_cbranch_execz .LBB41_87
; %bb.10:
	s_load_dwordx16 s[8:23], s[4:5], 0x8
	v_lshlrev_b32_e32 v5, 2, v5
	v_lshlrev_b32_e32 v0, 3, v0
	s_mov_b32 s6, exec_lo
	v_and_b32_e32 v0, 0x700, v0
	v_or_b32_e32 v27, 0x800, v0
	s_waitcnt lgkmcnt(0)
	global_load_dword v17, v5, s[18:19]
	s_waitcnt vmcnt(0)
	v_ashrrev_i32_e32 v18, 31, v17
	v_lshlrev_b64 v[13:14], 2, v[17:18]
	v_add_co_u32 v5, vcc_lo, s8, v13
	v_add_co_ci_u32_e64 v6, null, s9, v14, vcc_lo
	v_add_co_u32 v7, vcc_lo, s14, v13
	v_add_co_ci_u32_e64 v8, null, s15, v14, vcc_lo
	global_load_dwordx2 v[5:6], v[5:6], off
	global_load_dword v18, v[7:8], off
	s_waitcnt vmcnt(1)
	v_subrev_nc_u32_e32 v19, s34, v5
	v_subrev_nc_u32_e32 v7, s34, v6
	v_add_nc_u32_e32 v5, v19, v24
	v_cmpx_lt_i32_e64 v5, v7
	s_cbranch_execz .LBB41_33
; %bb.11:
	v_mov_b32_e32 v8, -1
	s_mov_b32 s7, 0
	s_branch .LBB41_13
.LBB41_12:                              ;   in Loop: Header=BB41_13 Depth=1
	s_or_b32 exec_lo, exec_lo, s18
	v_add_nc_u32_e32 v5, 32, v5
	v_cmp_ge_i32_e32 vcc_lo, v5, v7
	s_or_b32 s7, vcc_lo, s7
	s_andn2_b32 exec_lo, exec_lo, s7
	s_cbranch_execz .LBB41_33
.LBB41_13:                              ; =>This Loop Header: Depth=1
                                        ;     Child Loop BB41_22 Depth 2
	v_ashrrev_i32_e32 v6, 31, v5
	s_mov_b32 s18, 0
                                        ; implicit-def: $sgpr19
                                        ; implicit-def: $sgpr26
                                        ; implicit-def: $sgpr27
	v_lshlrev_b64 v[9:10], 2, v[5:6]
	v_add_co_u32 v9, vcc_lo, s10, v9
	v_add_co_ci_u32_e64 v10, null, s11, v10, vcc_lo
	global_load_dword v6, v[9:10], off
	v_mov_b32_e32 v9, 64
	s_waitcnt vmcnt(0)
	v_mul_lo_u32 v11, v6, 39
	s_branch .LBB41_22
.LBB41_14:                              ;   in Loop: Header=BB41_22 Depth=2
	s_or_b32 exec_lo, exec_lo, s39
	s_orn2_b32 s37, s37, exec_lo
	s_orn2_b32 s38, s38, exec_lo
.LBB41_15:                              ;   in Loop: Header=BB41_22 Depth=2
	s_or_b32 exec_lo, exec_lo, s36
	s_and_b32 s37, s37, exec_lo
	s_orn2_b32 s36, s38, exec_lo
.LBB41_16:                              ;   in Loop: Header=BB41_22 Depth=2
	s_or_b32 exec_lo, exec_lo, s35
	s_orn2_b32 s35, s37, exec_lo
	s_orn2_b32 s36, s36, exec_lo
.LBB41_17:                              ;   in Loop: Header=BB41_22 Depth=2
	s_or_b32 exec_lo, exec_lo, s33
	s_and_b32 s35, s35, exec_lo
	s_orn2_b32 s33, s36, exec_lo
.LBB41_18:                              ;   in Loop: Header=BB41_22 Depth=2
	s_or_b32 exec_lo, exec_lo, s31
	s_orn2_b32 s31, s35, exec_lo
	s_orn2_b32 s33, s33, exec_lo
.LBB41_19:                              ;   in Loop: Header=BB41_22 Depth=2
	s_or_b32 exec_lo, exec_lo, s30
	s_and_b32 s31, s31, exec_lo
	s_orn2_b32 s30, s33, exec_lo
.LBB41_20:                              ;   in Loop: Header=BB41_22 Depth=2
	s_or_b32 exec_lo, exec_lo, s29
	s_andn2_b32 s27, s27, exec_lo
	s_and_b32 s29, s31, exec_lo
	s_andn2_b32 s26, s26, exec_lo
	s_and_b32 s30, s30, exec_lo
	s_or_b32 s27, s27, s29
	s_or_b32 s26, s26, s30
.LBB41_21:                              ;   in Loop: Header=BB41_22 Depth=2
	s_or_b32 exec_lo, exec_lo, s28
	s_and_b32 s28, exec_lo, s26
	s_or_b32 s18, s28, s18
	s_andn2_b32 s19, s19, exec_lo
	s_and_b32 s28, s27, exec_lo
	s_or_b32 s19, s19, s28
	s_andn2_b32 exec_lo, exec_lo, s18
	s_cbranch_execz .LBB41_31
.LBB41_22:                              ;   Parent Loop BB41_13 Depth=1
                                        ; =>  This Inner Loop Header: Depth=2
	v_and_b32_e32 v10, 63, v11
	s_or_b32 s27, s27, exec_lo
	s_or_b32 s26, s26, exec_lo
	s_mov_b32 s28, exec_lo
	v_lshl_add_u32 v12, v10, 2, v27
	ds_read_b32 v20, v12
	s_waitcnt lgkmcnt(0)
	v_cmpx_ne_u32_e64 v20, v6
	s_cbranch_execz .LBB41_21
; %bb.23:                               ;   in Loop: Header=BB41_22 Depth=2
	ds_cmpst_rtn_b32 v12, v12, v8, v6
	s_mov_b32 s30, -1
	s_mov_b32 s31, 0
	s_mov_b32 s29, exec_lo
	s_waitcnt lgkmcnt(0)
	v_cmpx_ne_u32_e32 -1, v12
	s_cbranch_execz .LBB41_20
; %bb.24:                               ;   in Loop: Header=BB41_22 Depth=2
	v_add_nc_u32_e32 v10, 1, v11
	s_mov_b32 s33, -1
	s_mov_b32 s31, -1
	s_mov_b32 s30, exec_lo
	v_and_b32_e32 v10, 63, v10
	v_lshl_add_u32 v12, v10, 2, v27
	ds_read_b32 v20, v12
	s_waitcnt lgkmcnt(0)
	v_cmpx_ne_u32_e64 v20, v6
	s_cbranch_execz .LBB41_19
; %bb.25:                               ;   in Loop: Header=BB41_22 Depth=2
	ds_cmpst_rtn_b32 v12, v12, v8, v6
	s_mov_b32 s35, 0
	s_mov_b32 s31, exec_lo
	s_waitcnt lgkmcnt(0)
	v_cmpx_ne_u32_e32 -1, v12
	s_cbranch_execz .LBB41_18
; %bb.26:                               ;   in Loop: Header=BB41_22 Depth=2
	v_add_nc_u32_e32 v10, 2, v11
	s_mov_b32 s36, -1
	s_mov_b32 s35, -1
	s_mov_b32 s33, exec_lo
	v_and_b32_e32 v10, 63, v10
	v_lshl_add_u32 v12, v10, 2, v27
	ds_read_b32 v20, v12
	s_waitcnt lgkmcnt(0)
	v_cmpx_ne_u32_e64 v20, v6
	s_cbranch_execz .LBB41_17
; %bb.27:                               ;   in Loop: Header=BB41_22 Depth=2
	ds_cmpst_rtn_b32 v12, v12, v8, v6
	s_mov_b32 s37, 0
	s_mov_b32 s35, exec_lo
	s_waitcnt lgkmcnt(0)
	v_cmpx_ne_u32_e32 -1, v12
	s_cbranch_execz .LBB41_16
; %bb.28:                               ;   in Loop: Header=BB41_22 Depth=2
	v_add_nc_u32_e32 v10, 3, v11
	s_mov_b32 s38, -1
	s_mov_b32 s37, -1
	v_and_b32_e32 v10, 63, v10
	v_lshl_add_u32 v12, v10, 2, v27
	ds_read_b32 v11, v12
	s_waitcnt lgkmcnt(0)
	v_cmp_ne_u32_e32 vcc_lo, v11, v6
                                        ; implicit-def: $vgpr11
	s_and_saveexec_b32 s36, vcc_lo
	s_cbranch_execz .LBB41_15
; %bb.29:                               ;   in Loop: Header=BB41_22 Depth=2
	ds_cmpst_rtn_b32 v11, v12, v8, v6
	s_mov_b32 s37, 0
	s_waitcnt lgkmcnt(0)
	v_cmp_ne_u32_e32 vcc_lo, -1, v11
                                        ; implicit-def: $vgpr11
	s_and_saveexec_b32 s39, vcc_lo
	s_cbranch_execz .LBB41_14
; %bb.30:                               ;   in Loop: Header=BB41_22 Depth=2
	v_add_nc_u32_e32 v9, -4, v9
	v_add_nc_u32_e32 v11, 1, v10
	s_mov_b32 s37, exec_lo
	v_cmp_eq_u32_e32 vcc_lo, 0, v9
	s_orn2_b32 s38, vcc_lo, exec_lo
	s_branch .LBB41_14
.LBB41_31:                              ;   in Loop: Header=BB41_13 Depth=1
	s_or_b32 exec_lo, exec_lo, s18
	s_xor_b32 s18, s19, -1
	s_and_saveexec_b32 s19, s18
	s_xor_b32 s18, exec_lo, s19
	s_cbranch_execz .LBB41_12
; %bb.32:                               ;   in Loop: Header=BB41_13 Depth=1
	v_lshl_add_u32 v6, v10, 2, v0
	ds_write_b32 v6, v5
	s_branch .LBB41_12
.LBB41_33:
	s_or_b32 exec_lo, exec_lo, s6
	s_mov_b32 s7, exec_lo
	s_waitcnt vmcnt(0) lgkmcnt(0)
	buffer_gl0_inv
	v_cmpx_lt_i32_e64 v19, v18
	s_cbranch_execz .LBB41_63
; %bb.34:
	v_add_nc_u32_e32 v28, 1, v24
	s_mov_b32 s18, 0
	s_branch .LBB41_37
.LBB41_35:                              ;   in Loop: Header=BB41_37 Depth=1
	s_or_b32 exec_lo, exec_lo, s19
	v_add_nc_u32_e32 v19, 1, v19
	v_cmp_ge_i32_e32 vcc_lo, v19, v18
	s_orn2_b32 s19, vcc_lo, exec_lo
.LBB41_36:                              ;   in Loop: Header=BB41_37 Depth=1
	s_or_b32 exec_lo, exec_lo, s6
	s_and_b32 s6, exec_lo, s19
	s_or_b32 s18, s6, s18
	s_andn2_b32 exec_lo, exec_lo, s18
	s_cbranch_execz .LBB41_63
.LBB41_37:                              ; =>This Loop Header: Depth=1
                                        ;     Child Loop BB41_38 Depth 2
                                        ;     Child Loop BB41_43 Depth 2
                                        ;       Child Loop BB41_52 Depth 3
	v_ashrrev_i32_e32 v20, 31, v19
	s_mov_b32 s6, 0
	v_lshlrev_b64 v[5:6], 2, v[19:20]
	v_lshlrev_b64 v[7:8], 4, v[19:20]
	v_add_co_u32 v5, vcc_lo, s10, v5
	v_add_co_ci_u32_e64 v6, null, s11, v6, vcc_lo
	v_add_co_u32 v20, vcc_lo, s12, v7
	v_add_co_ci_u32_e64 v21, null, s13, v8, vcc_lo
	global_load_dword v5, v[5:6], off
	s_waitcnt vmcnt(0)
	v_subrev_nc_u32_e32 v5, s34, v5
	v_ashrrev_i32_e32 v6, 31, v5
	v_lshlrev_b64 v[9:10], 2, v[5:6]
	v_add_co_u32 v11, vcc_lo, s8, v9
	v_add_co_ci_u32_e64 v12, null, s9, v10, vcc_lo
	v_add_co_u32 v22, vcc_lo, s14, v9
	v_add_co_ci_u32_e64 v23, null, s15, v10, vcc_lo
	global_load_dwordx4 v[5:8], v[20:21], off
	global_load_dword v11, v[11:12], off offset:4
	global_load_dword v12, v[22:23], off
	v_add_co_u32 v9, vcc_lo, s16, v9
	v_add_co_ci_u32_e64 v10, null, s17, v10, vcc_lo
.LBB41_38:                              ;   Parent Loop BB41_37 Depth=1
                                        ; =>  This Inner Loop Header: Depth=2
	global_load_dword v22, v[9:10], off glc dlc
	s_waitcnt vmcnt(0)
	v_cmp_ne_u32_e32 vcc_lo, 0, v22
	s_or_b32 s6, vcc_lo, s6
	s_andn2_b32 exec_lo, exec_lo, s6
	s_cbranch_execnz .LBB41_38
; %bb.39:                               ;   in Loop: Header=BB41_37 Depth=1
	s_or_b32 exec_lo, exec_lo, s6
	v_subrev_nc_u32_e32 v29, s34, v11
	v_cmp_eq_u32_e32 vcc_lo, -1, v12
	buffer_gl1_inv
	buffer_gl0_inv
	s_mov_b32 s19, -1
	v_add_nc_u32_e32 v9, -1, v29
	v_cndmask_b32_e32 v22, v12, v9, vcc_lo
	v_ashrrev_i32_e32 v23, 31, v22
	v_lshlrev_b64 v[9:10], 4, v[22:23]
	v_add_co_u32 v9, vcc_lo, s12, v9
	v_add_co_ci_u32_e64 v10, null, s13, v10, vcc_lo
	global_load_dwordx4 v[9:12], v[9:10], off
	s_waitcnt vmcnt(0)
	v_cmp_neq_f64_e32 vcc_lo, 0, v[9:10]
	v_cmp_neq_f64_e64 s6, 0, v[11:12]
	s_or_b32 s26, vcc_lo, s6
	s_and_saveexec_b32 s6, s26
	s_cbranch_execz .LBB41_36
; %bb.40:                               ;   in Loop: Header=BB41_37 Depth=1
	v_mul_f64 v[30:31], v[11:12], v[11:12]
	s_mov_b32 s19, exec_lo
	v_fma_f64 v[30:31], v[9:10], v[9:10], v[30:31]
	v_div_scale_f64 v[32:33], null, v[30:31], v[30:31], 1.0
	v_div_scale_f64 v[38:39], vcc_lo, 1.0, v[30:31], 1.0
	v_rcp_f64_e32 v[34:35], v[32:33]
	v_fma_f64 v[36:37], -v[32:33], v[34:35], 1.0
	v_fma_f64 v[34:35], v[34:35], v[36:37], v[34:35]
	v_fma_f64 v[36:37], -v[32:33], v[34:35], 1.0
	v_fma_f64 v[34:35], v[34:35], v[36:37], v[34:35]
	v_mul_f64 v[36:37], v[38:39], v[34:35]
	v_fma_f64 v[32:33], -v[32:33], v[36:37], v[38:39]
	v_mul_f64 v[38:39], v[7:8], v[11:12]
	v_mul_f64 v[11:12], v[11:12], -v[5:6]
	v_div_fmas_f64 v[32:33], v[32:33], v[34:35], v[36:37]
	v_fma_f64 v[5:6], v[5:6], v[9:10], v[38:39]
	v_fma_f64 v[7:8], v[7:8], v[9:10], v[11:12]
	v_add_nc_u32_e32 v9, v28, v22
	v_div_fixup_f64 v[30:31], v[32:33], v[30:31], 1.0
	v_mul_f64 v[5:6], v[5:6], v[30:31]
	v_mul_f64 v[7:8], v[7:8], v[30:31]
	global_store_dwordx4 v[20:21], v[5:8], off
	v_cmpx_lt_i32_e64 v9, v29
	s_cbranch_execz .LBB41_35
; %bb.41:                               ;   in Loop: Header=BB41_37 Depth=1
	s_mov_b32 s26, 0
	s_branch .LBB41_43
.LBB41_42:                              ;   in Loop: Header=BB41_43 Depth=2
	s_or_b32 exec_lo, exec_lo, s27
	v_add_nc_u32_e32 v9, 32, v9
	v_cmp_ge_i32_e32 vcc_lo, v9, v29
	s_or_b32 s26, vcc_lo, s26
	s_andn2_b32 exec_lo, exec_lo, s26
	s_cbranch_execz .LBB41_35
.LBB41_43:                              ;   Parent Loop BB41_37 Depth=1
                                        ; =>  This Loop Header: Depth=2
                                        ;       Child Loop BB41_52 Depth 3
	v_ashrrev_i32_e32 v10, 31, v9
	s_mov_b32 s27, 0
                                        ; implicit-def: $sgpr28
                                        ; implicit-def: $sgpr29
                                        ; implicit-def: $sgpr30
	v_lshlrev_b64 v[11:12], 2, v[9:10]
	v_add_co_u32 v11, vcc_lo, s10, v11
	v_add_co_ci_u32_e64 v12, null, s11, v12, vcc_lo
	global_load_dword v11, v[11:12], off
	v_mov_b32_e32 v12, 64
	s_waitcnt vmcnt(0)
	v_mul_lo_u32 v21, v11, 39
	s_branch .LBB41_52
.LBB41_44:                              ;   in Loop: Header=BB41_52 Depth=3
	s_or_b32 exec_lo, exec_lo, s42
	s_orn2_b32 s40, s40, exec_lo
	s_orn2_b32 s41, s41, exec_lo
.LBB41_45:                              ;   in Loop: Header=BB41_52 Depth=3
	s_or_b32 exec_lo, exec_lo, s39
	s_and_b32 s40, s40, exec_lo
	s_orn2_b32 s39, s41, exec_lo
.LBB41_46:                              ;   in Loop: Header=BB41_52 Depth=3
	s_or_b32 exec_lo, exec_lo, s38
	s_orn2_b32 s38, s40, exec_lo
	s_orn2_b32 s39, s39, exec_lo
.LBB41_47:                              ;   in Loop: Header=BB41_52 Depth=3
	s_or_b32 exec_lo, exec_lo, s37
	s_and_b32 s38, s38, exec_lo
	s_orn2_b32 s37, s39, exec_lo
.LBB41_48:                              ;   in Loop: Header=BB41_52 Depth=3
	s_or_b32 exec_lo, exec_lo, s36
	s_orn2_b32 s36, s38, exec_lo
	s_orn2_b32 s37, s37, exec_lo
.LBB41_49:                              ;   in Loop: Header=BB41_52 Depth=3
	s_or_b32 exec_lo, exec_lo, s35
	s_and_b32 s36, s36, exec_lo
	s_orn2_b32 s35, s37, exec_lo
.LBB41_50:                              ;   in Loop: Header=BB41_52 Depth=3
	s_or_b32 exec_lo, exec_lo, s33
	s_andn2_b32 s30, s30, exec_lo
	s_and_b32 s33, s36, exec_lo
	s_andn2_b32 s29, s29, exec_lo
	s_and_b32 s35, s35, exec_lo
	s_or_b32 s30, s30, s33
	s_or_b32 s29, s29, s35
.LBB41_51:                              ;   in Loop: Header=BB41_52 Depth=3
	s_or_b32 exec_lo, exec_lo, s31
	s_and_b32 s31, exec_lo, s29
	s_or_b32 s27, s31, s27
	s_andn2_b32 s28, s28, exec_lo
	s_and_b32 s31, s30, exec_lo
	s_or_b32 s28, s28, s31
	s_andn2_b32 exec_lo, exec_lo, s27
	s_cbranch_execz .LBB41_61
.LBB41_52:                              ;   Parent Loop BB41_37 Depth=1
                                        ;     Parent Loop BB41_43 Depth=2
                                        ; =>    This Inner Loop Header: Depth=3
	v_and_b32_e32 v20, 63, v21
	s_or_b32 s30, s30, exec_lo
	s_or_b32 s29, s29, exec_lo
	s_mov_b32 s31, exec_lo
	v_lshl_add_u32 v22, v20, 2, v27
	ds_read_b32 v22, v22
	s_waitcnt lgkmcnt(0)
	v_cmpx_ne_u32_e32 -1, v22
	s_cbranch_execz .LBB41_51
; %bb.53:                               ;   in Loop: Header=BB41_52 Depth=3
	s_mov_b32 s35, -1
	s_mov_b32 s36, 0
	s_mov_b32 s33, exec_lo
	v_cmpx_ne_u32_e64 v22, v11
	s_cbranch_execz .LBB41_50
; %bb.54:                               ;   in Loop: Header=BB41_52 Depth=3
	v_add_nc_u32_e32 v20, 1, v21
	s_mov_b32 s37, -1
	s_mov_b32 s36, -1
	s_mov_b32 s35, exec_lo
	v_and_b32_e32 v20, 63, v20
	v_lshl_add_u32 v22, v20, 2, v27
	ds_read_b32 v22, v22
	s_waitcnt lgkmcnt(0)
	v_cmpx_ne_u32_e32 -1, v22
	s_cbranch_execz .LBB41_49
; %bb.55:                               ;   in Loop: Header=BB41_52 Depth=3
	s_mov_b32 s38, 0
	s_mov_b32 s36, exec_lo
	v_cmpx_ne_u32_e64 v22, v11
	s_cbranch_execz .LBB41_48
; %bb.56:                               ;   in Loop: Header=BB41_52 Depth=3
	v_add_nc_u32_e32 v20, 2, v21
	s_mov_b32 s39, -1
	s_mov_b32 s38, -1
	s_mov_b32 s37, exec_lo
	v_and_b32_e32 v20, 63, v20
	v_lshl_add_u32 v22, v20, 2, v27
	ds_read_b32 v22, v22
	s_waitcnt lgkmcnt(0)
	v_cmpx_ne_u32_e32 -1, v22
	s_cbranch_execz .LBB41_47
; %bb.57:                               ;   in Loop: Header=BB41_52 Depth=3
	s_mov_b32 s40, 0
	s_mov_b32 s38, exec_lo
	v_cmpx_ne_u32_e64 v22, v11
	s_cbranch_execz .LBB41_46
; %bb.58:                               ;   in Loop: Header=BB41_52 Depth=3
	v_add_nc_u32_e32 v20, 3, v21
	s_mov_b32 s41, -1
	s_mov_b32 s40, -1
	s_mov_b32 s39, exec_lo
	v_and_b32_e32 v20, 63, v20
	v_lshl_add_u32 v21, v20, 2, v27
	ds_read_b32 v22, v21
                                        ; implicit-def: $vgpr21
	s_waitcnt lgkmcnt(0)
	v_cmpx_ne_u32_e32 -1, v22
	s_cbranch_execz .LBB41_45
; %bb.59:                               ;   in Loop: Header=BB41_52 Depth=3
	s_mov_b32 s40, 0
	s_mov_b32 s42, exec_lo
                                        ; implicit-def: $vgpr21
	v_cmpx_ne_u32_e64 v22, v11
	s_cbranch_execz .LBB41_44
; %bb.60:                               ;   in Loop: Header=BB41_52 Depth=3
	v_add_nc_u32_e32 v12, -4, v12
	v_add_nc_u32_e32 v21, 1, v20
	s_mov_b32 s40, exec_lo
	v_cmp_eq_u32_e32 vcc_lo, 0, v12
	s_orn2_b32 s41, vcc_lo, exec_lo
	s_branch .LBB41_44
.LBB41_61:                              ;   in Loop: Header=BB41_43 Depth=2
	s_or_b32 exec_lo, exec_lo, s27
	s_xor_b32 s27, s28, -1
	s_and_saveexec_b32 s28, s27
	s_xor_b32 s27, exec_lo, s28
	s_cbranch_execz .LBB41_42
; %bb.62:                               ;   in Loop: Header=BB41_43 Depth=2
	v_lshl_add_u32 v11, v20, 2, v0
	v_lshlrev_b64 v[20:21], 4, v[9:10]
	ds_read_b32 v11, v11
	v_add_co_u32 v20, vcc_lo, s12, v20
	v_add_co_ci_u32_e64 v21, null, s13, v21, vcc_lo
	s_waitcnt lgkmcnt(0)
	v_ashrrev_i32_e32 v12, 31, v11
	v_lshlrev_b64 v[10:11], 4, v[11:12]
	v_add_co_u32 v10, vcc_lo, s12, v10
	v_add_co_ci_u32_e64 v11, null, s13, v11, vcc_lo
	s_clause 0x1
	global_load_dwordx4 v[20:23], v[20:21], off
	global_load_dwordx4 v[30:33], v[10:11], off
	s_waitcnt vmcnt(0)
	v_fma_f64 v[30:31], -v[5:6], v[20:21], v[30:31]
	v_fma_f64 v[32:33], -v[7:8], v[20:21], v[32:33]
	v_fma_f64 v[20:21], v[7:8], v[22:23], v[30:31]
	v_fma_f64 v[22:23], -v[5:6], v[22:23], v[32:33]
	global_store_dwordx4 v[10:11], v[20:23], off
	s_branch .LBB41_42
.LBB41_63:
	s_or_b32 exec_lo, exec_lo, s7
	s_mov_b32 s7, exec_lo
	s_waitcnt_vscnt null, 0x0
	buffer_gl0_inv
	v_cmpx_lt_i32_e32 -1, v18
	s_cbranch_execz .LBB41_85
; %bb.64:
	v_mov_b32_e32 v19, 0
	s_mov_b32 s6, exec_lo
	v_lshlrev_b64 v[5:6], 4, v[18:19]
	v_add_co_u32 v9, vcc_lo, s12, v5
	v_add_co_ci_u32_e64 v10, null, s13, v6, vcc_lo
	global_load_dwordx4 v[5:8], v[9:10], off
	s_waitcnt vmcnt(0)
	v_cmp_gt_f64_e32 vcc_lo, 0, v[5:6]
	v_xor_b32_e32 v0, 0x80000000, v6
	v_xor_b32_e32 v18, 0x80000000, v8
	v_mov_b32_e32 v11, v5
	v_mov_b32_e32 v20, v7
	v_cndmask_b32_e32 v12, v6, v0, vcc_lo
	v_cmp_gt_f64_e32 vcc_lo, 0, v[7:8]
	v_cndmask_b32_e32 v21, v8, v18, vcc_lo
                                        ; implicit-def: $vgpr18_vgpr19
	v_cmpx_ngt_f64_e32 v[11:12], v[20:21]
	s_xor_b32 s6, exec_lo, s6
	s_cbranch_execz .LBB41_68
; %bb.65:
	v_mov_b32_e32 v18, 0
	v_mov_b32_e32 v19, 0
	s_mov_b32 s8, exec_lo
	v_cmpx_neq_f64_e32 0, v[7:8]
	s_cbranch_execz .LBB41_67
; %bb.66:
	v_div_scale_f64 v[18:19], null, v[20:21], v[20:21], v[11:12]
	v_div_scale_f64 v[29:30], vcc_lo, v[11:12], v[20:21], v[11:12]
	v_rcp_f64_e32 v[22:23], v[18:19]
	v_fma_f64 v[27:28], -v[18:19], v[22:23], 1.0
	v_fma_f64 v[22:23], v[22:23], v[27:28], v[22:23]
	v_fma_f64 v[27:28], -v[18:19], v[22:23], 1.0
	v_fma_f64 v[22:23], v[22:23], v[27:28], v[22:23]
	v_mul_f64 v[27:28], v[29:30], v[22:23]
	v_fma_f64 v[18:19], -v[18:19], v[27:28], v[29:30]
	v_div_fmas_f64 v[18:19], v[18:19], v[22:23], v[27:28]
	v_div_fixup_f64 v[11:12], v[18:19], v[20:21], v[11:12]
	v_fma_f64 v[11:12], v[11:12], v[11:12], 1.0
	v_cmp_gt_f64_e32 vcc_lo, 0x10000000, v[11:12]
	v_cndmask_b32_e64 v0, 0, 0x100, vcc_lo
	v_ldexp_f64 v[11:12], v[11:12], v0
	v_cndmask_b32_e64 v0, 0, 0xffffff80, vcc_lo
	v_rsq_f64_e32 v[18:19], v[11:12]
	v_cmp_class_f64_e64 vcc_lo, v[11:12], 0x260
	v_mul_f64 v[22:23], v[11:12], v[18:19]
	v_mul_f64 v[18:19], v[18:19], 0.5
	v_fma_f64 v[27:28], -v[18:19], v[22:23], 0.5
	v_fma_f64 v[22:23], v[22:23], v[27:28], v[22:23]
	v_fma_f64 v[18:19], v[18:19], v[27:28], v[18:19]
	v_fma_f64 v[27:28], -v[22:23], v[22:23], v[11:12]
	v_fma_f64 v[22:23], v[27:28], v[18:19], v[22:23]
	v_fma_f64 v[27:28], -v[22:23], v[22:23], v[11:12]
	v_fma_f64 v[18:19], v[27:28], v[18:19], v[22:23]
	v_ldexp_f64 v[18:19], v[18:19], v0
	v_cndmask_b32_e32 v12, v19, v12, vcc_lo
	v_cndmask_b32_e32 v11, v18, v11, vcc_lo
	v_mul_f64 v[18:19], v[20:21], v[11:12]
.LBB41_67:
	s_or_b32 exec_lo, exec_lo, s8
                                        ; implicit-def: $vgpr11_vgpr12
                                        ; implicit-def: $vgpr20_vgpr21
.LBB41_68:
	s_andn2_saveexec_b32 s6, s6
	s_cbranch_execz .LBB41_70
; %bb.69:
	v_div_scale_f64 v[18:19], null, v[11:12], v[11:12], v[20:21]
	v_div_scale_f64 v[29:30], vcc_lo, v[20:21], v[11:12], v[20:21]
	v_rcp_f64_e32 v[22:23], v[18:19]
	v_fma_f64 v[27:28], -v[18:19], v[22:23], 1.0
	v_fma_f64 v[22:23], v[22:23], v[27:28], v[22:23]
	v_fma_f64 v[27:28], -v[18:19], v[22:23], 1.0
	v_fma_f64 v[22:23], v[22:23], v[27:28], v[22:23]
	v_mul_f64 v[27:28], v[29:30], v[22:23]
	v_fma_f64 v[18:19], -v[18:19], v[27:28], v[29:30]
	v_div_fmas_f64 v[18:19], v[18:19], v[22:23], v[27:28]
	v_div_fixup_f64 v[18:19], v[18:19], v[11:12], v[20:21]
	v_fma_f64 v[18:19], v[18:19], v[18:19], 1.0
	v_cmp_gt_f64_e32 vcc_lo, 0x10000000, v[18:19]
	v_cndmask_b32_e64 v0, 0, 0x100, vcc_lo
	v_ldexp_f64 v[18:19], v[18:19], v0
	v_cndmask_b32_e64 v0, 0, 0xffffff80, vcc_lo
	v_rsq_f64_e32 v[20:21], v[18:19]
	v_cmp_class_f64_e64 vcc_lo, v[18:19], 0x260
	v_mul_f64 v[22:23], v[18:19], v[20:21]
	v_mul_f64 v[20:21], v[20:21], 0.5
	v_fma_f64 v[27:28], -v[20:21], v[22:23], 0.5
	v_fma_f64 v[22:23], v[22:23], v[27:28], v[22:23]
	v_fma_f64 v[20:21], v[20:21], v[27:28], v[20:21]
	v_fma_f64 v[27:28], -v[22:23], v[22:23], v[18:19]
	v_fma_f64 v[22:23], v[27:28], v[20:21], v[22:23]
	v_fma_f64 v[27:28], -v[22:23], v[22:23], v[18:19]
	v_fma_f64 v[20:21], v[27:28], v[20:21], v[22:23]
	v_ldexp_f64 v[20:21], v[20:21], v0
	v_cndmask_b32_e32 v19, v21, v19, vcc_lo
	v_cndmask_b32_e32 v18, v20, v18, vcc_lo
	v_mul_f64 v[18:19], v[11:12], v[18:19]
.LBB41_70:
	s_or_b32 exec_lo, exec_lo, s6
	v_cmp_ne_u32_e32 vcc_lo, 1, v26
	v_cmp_eq_u32_e64 s6, 0, v24
	s_mov_b32 s8, -1
	s_cbranch_vccnz .LBB41_74
; %bb.71:
	v_cvt_f64_f32_e32 v[11:12], v25
	s_cmp_eq_u64 s[24:25], 8
	s_cselect_b32 vcc_lo, -1, 0
	v_cndmask_b32_e32 v12, v12, v16, vcc_lo
	v_cndmask_b32_e32 v11, v11, v15, vcc_lo
	v_cmp_le_f64_e32 vcc_lo, v[18:19], v[11:12]
	s_and_b32 s9, s6, vcc_lo
	s_and_saveexec_b32 s8, s9
	s_cbranch_execz .LBB41_73
; %bb.72:
	global_store_dwordx4 v[9:10], v[1:4], off
	s_waitcnt_vscnt null, 0x0
	buffer_gl1_inv
	buffer_gl0_inv
.LBB41_73:
	s_or_b32 exec_lo, exec_lo, s8
	s_mov_b32 s8, 0
.LBB41_74:
	s_andn2_b32 vcc_lo, exec_lo, s8
	s_cbranch_vccnz .LBB41_85
; %bb.75:
	s_load_dwordx2 s[4:5], s[4:5], 0x48
	v_add_nc_u32_e32 v0, s34, v17
	s_waitcnt lgkmcnt(0)
	v_cmp_ge_f64_e32 vcc_lo, s[4:5], v[18:19]
	s_and_b32 s5, s6, vcc_lo
	s_and_saveexec_b32 s4, s5
	s_cbranch_execz .LBB41_80
; %bb.76:
	s_mov_b32 s8, exec_lo
	s_brev_b32 s5, -2
.LBB41_77:                              ; =>This Inner Loop Header: Depth=1
	s_ff1_i32_b32 s9, s8
	v_readlane_b32 s10, v0, s9
	s_lshl_b32 s9, 1, s9
	s_andn2_b32 s8, s8, s9
	s_min_i32 s5, s5, s10
	s_cmp_lg_u32 s8, 0
	s_cbranch_scc1 .LBB41_77
; %bb.78:
	v_mbcnt_lo_u32_b32 v1, exec_lo, 0
	s_mov_b32 s8, exec_lo
	v_cmpx_eq_u32_e32 0, v1
	s_xor_b32 s8, exec_lo, s8
	s_cbranch_execz .LBB41_80
; %bb.79:
	v_mov_b32_e32 v1, 0
	v_mov_b32_e32 v2, s5
	global_atomic_smin v1, v2, s[22:23]
.LBB41_80:
	s_or_b32 exec_lo, exec_lo, s4
	v_cmp_eq_f64_e32 vcc_lo, 0, v[5:6]
	v_cmp_eq_f64_e64 s4, 0, v[7:8]
	s_and_b32 s4, vcc_lo, s4
	s_and_b32 s4, s6, s4
	s_and_b32 exec_lo, exec_lo, s4
	s_cbranch_execz .LBB41_85
; %bb.81:
	s_mov_b32 s5, exec_lo
	s_brev_b32 s4, -2
.LBB41_82:                              ; =>This Inner Loop Header: Depth=1
	s_ff1_i32_b32 s6, s5
	v_readlane_b32 s8, v0, s6
	s_lshl_b32 s6, 1, s6
	s_andn2_b32 s5, s5, s6
	s_min_i32 s4, s4, s8
	s_cmp_lg_u32 s5, 0
	s_cbranch_scc1 .LBB41_82
; %bb.83:
	v_mbcnt_lo_u32_b32 v0, exec_lo, 0
	s_mov_b32 s5, exec_lo
	v_cmpx_eq_u32_e32 0, v0
	s_xor_b32 s5, exec_lo, s5
	s_cbranch_execz .LBB41_85
; %bb.84:
	v_mov_b32_e32 v0, 0
	v_mov_b32_e32 v1, s4
	global_atomic_smin v0, v1, s[20:21]
.LBB41_85:
	s_or_b32 exec_lo, exec_lo, s7
	v_cmp_eq_u32_e32 vcc_lo, 0, v24
	s_waitcnt_vscnt null, 0x0
	buffer_gl1_inv
	buffer_gl0_inv
	s_and_b32 exec_lo, exec_lo, vcc_lo
	s_cbranch_execz .LBB41_87
; %bb.86:
	v_add_co_u32 v0, vcc_lo, s16, v13
	v_add_co_ci_u32_e64 v1, null, s17, v14, vcc_lo
	v_mov_b32_e32 v2, 1
	global_store_dword v[0:1], v2, off
.LBB41_87:
	s_endpgm
	.section	.rodata,"a",@progbits
	.p2align	6, 0x0
	.amdhsa_kernel _ZN9rocsparseL12csrilu0_hashILj256ELj32ELj2E21rocsparse_complex_numIdEEEviPKiS4_PT2_S4_PiS4_S7_S7_d21rocsparse_index_base_imNS_24const_host_device_scalarIfEENS9_IdEENS9_IS5_EEb
		.amdhsa_group_segment_fixed_size 4096
		.amdhsa_private_segment_fixed_size 16
		.amdhsa_kernarg_size 132
		.amdhsa_user_sgpr_count 8
		.amdhsa_user_sgpr_private_segment_buffer 1
		.amdhsa_user_sgpr_dispatch_ptr 0
		.amdhsa_user_sgpr_queue_ptr 0
		.amdhsa_user_sgpr_kernarg_segment_ptr 1
		.amdhsa_user_sgpr_dispatch_id 0
		.amdhsa_user_sgpr_flat_scratch_init 1
		.amdhsa_user_sgpr_private_segment_size 0
		.amdhsa_wavefront_size32 1
		.amdhsa_uses_dynamic_stack 0
		.amdhsa_system_sgpr_private_segment_wavefront_offset 1
		.amdhsa_system_sgpr_workgroup_id_x 1
		.amdhsa_system_sgpr_workgroup_id_y 0
		.amdhsa_system_sgpr_workgroup_id_z 0
		.amdhsa_system_sgpr_workgroup_info 0
		.amdhsa_system_vgpr_workitem_id 0
		.amdhsa_next_free_vgpr 40
		.amdhsa_next_free_sgpr 43
		.amdhsa_reserve_vcc 1
		.amdhsa_reserve_flat_scratch 1
		.amdhsa_float_round_mode_32 0
		.amdhsa_float_round_mode_16_64 0
		.amdhsa_float_denorm_mode_32 3
		.amdhsa_float_denorm_mode_16_64 3
		.amdhsa_dx10_clamp 1
		.amdhsa_ieee_mode 1
		.amdhsa_fp16_overflow 0
		.amdhsa_workgroup_processor_mode 1
		.amdhsa_memory_ordered 1
		.amdhsa_forward_progress 1
		.amdhsa_shared_vgpr_count 0
		.amdhsa_exception_fp_ieee_invalid_op 0
		.amdhsa_exception_fp_denorm_src 0
		.amdhsa_exception_fp_ieee_div_zero 0
		.amdhsa_exception_fp_ieee_overflow 0
		.amdhsa_exception_fp_ieee_underflow 0
		.amdhsa_exception_fp_ieee_inexact 0
		.amdhsa_exception_int_div_zero 0
	.end_amdhsa_kernel
	.section	.text._ZN9rocsparseL12csrilu0_hashILj256ELj32ELj2E21rocsparse_complex_numIdEEEviPKiS4_PT2_S4_PiS4_S7_S7_d21rocsparse_index_base_imNS_24const_host_device_scalarIfEENS9_IdEENS9_IS5_EEb,"axG",@progbits,_ZN9rocsparseL12csrilu0_hashILj256ELj32ELj2E21rocsparse_complex_numIdEEEviPKiS4_PT2_S4_PiS4_S7_S7_d21rocsparse_index_base_imNS_24const_host_device_scalarIfEENS9_IdEENS9_IS5_EEb,comdat
.Lfunc_end41:
	.size	_ZN9rocsparseL12csrilu0_hashILj256ELj32ELj2E21rocsparse_complex_numIdEEEviPKiS4_PT2_S4_PiS4_S7_S7_d21rocsparse_index_base_imNS_24const_host_device_scalarIfEENS9_IdEENS9_IS5_EEb, .Lfunc_end41-_ZN9rocsparseL12csrilu0_hashILj256ELj32ELj2E21rocsparse_complex_numIdEEEviPKiS4_PT2_S4_PiS4_S7_S7_d21rocsparse_index_base_imNS_24const_host_device_scalarIfEENS9_IdEENS9_IS5_EEb
                                        ; -- End function
	.set _ZN9rocsparseL12csrilu0_hashILj256ELj32ELj2E21rocsparse_complex_numIdEEEviPKiS4_PT2_S4_PiS4_S7_S7_d21rocsparse_index_base_imNS_24const_host_device_scalarIfEENS9_IdEENS9_IS5_EEb.num_vgpr, 40
	.set _ZN9rocsparseL12csrilu0_hashILj256ELj32ELj2E21rocsparse_complex_numIdEEEviPKiS4_PT2_S4_PiS4_S7_S7_d21rocsparse_index_base_imNS_24const_host_device_scalarIfEENS9_IdEENS9_IS5_EEb.num_agpr, 0
	.set _ZN9rocsparseL12csrilu0_hashILj256ELj32ELj2E21rocsparse_complex_numIdEEEviPKiS4_PT2_S4_PiS4_S7_S7_d21rocsparse_index_base_imNS_24const_host_device_scalarIfEENS9_IdEENS9_IS5_EEb.numbered_sgpr, 43
	.set _ZN9rocsparseL12csrilu0_hashILj256ELj32ELj2E21rocsparse_complex_numIdEEEviPKiS4_PT2_S4_PiS4_S7_S7_d21rocsparse_index_base_imNS_24const_host_device_scalarIfEENS9_IdEENS9_IS5_EEb.num_named_barrier, 0
	.set _ZN9rocsparseL12csrilu0_hashILj256ELj32ELj2E21rocsparse_complex_numIdEEEviPKiS4_PT2_S4_PiS4_S7_S7_d21rocsparse_index_base_imNS_24const_host_device_scalarIfEENS9_IdEENS9_IS5_EEb.private_seg_size, 16
	.set _ZN9rocsparseL12csrilu0_hashILj256ELj32ELj2E21rocsparse_complex_numIdEEEviPKiS4_PT2_S4_PiS4_S7_S7_d21rocsparse_index_base_imNS_24const_host_device_scalarIfEENS9_IdEENS9_IS5_EEb.uses_vcc, 1
	.set _ZN9rocsparseL12csrilu0_hashILj256ELj32ELj2E21rocsparse_complex_numIdEEEviPKiS4_PT2_S4_PiS4_S7_S7_d21rocsparse_index_base_imNS_24const_host_device_scalarIfEENS9_IdEENS9_IS5_EEb.uses_flat_scratch, 1
	.set _ZN9rocsparseL12csrilu0_hashILj256ELj32ELj2E21rocsparse_complex_numIdEEEviPKiS4_PT2_S4_PiS4_S7_S7_d21rocsparse_index_base_imNS_24const_host_device_scalarIfEENS9_IdEENS9_IS5_EEb.has_dyn_sized_stack, 0
	.set _ZN9rocsparseL12csrilu0_hashILj256ELj32ELj2E21rocsparse_complex_numIdEEEviPKiS4_PT2_S4_PiS4_S7_S7_d21rocsparse_index_base_imNS_24const_host_device_scalarIfEENS9_IdEENS9_IS5_EEb.has_recursion, 0
	.set _ZN9rocsparseL12csrilu0_hashILj256ELj32ELj2E21rocsparse_complex_numIdEEEviPKiS4_PT2_S4_PiS4_S7_S7_d21rocsparse_index_base_imNS_24const_host_device_scalarIfEENS9_IdEENS9_IS5_EEb.has_indirect_call, 0
	.section	.AMDGPU.csdata,"",@progbits
; Kernel info:
; codeLenInByte = 3476
; TotalNumSgprs: 45
; NumVgprs: 40
; ScratchSize: 16
; MemoryBound: 0
; FloatMode: 240
; IeeeMode: 1
; LDSByteSize: 4096 bytes/workgroup (compile time only)
; SGPRBlocks: 0
; VGPRBlocks: 4
; NumSGPRsForWavesPerEU: 45
; NumVGPRsForWavesPerEU: 40
; Occupancy: 16
; WaveLimiterHint : 1
; COMPUTE_PGM_RSRC2:SCRATCH_EN: 1
; COMPUTE_PGM_RSRC2:USER_SGPR: 8
; COMPUTE_PGM_RSRC2:TRAP_HANDLER: 0
; COMPUTE_PGM_RSRC2:TGID_X_EN: 1
; COMPUTE_PGM_RSRC2:TGID_Y_EN: 0
; COMPUTE_PGM_RSRC2:TGID_Z_EN: 0
; COMPUTE_PGM_RSRC2:TIDIG_COMP_CNT: 0
	.section	.text._ZN9rocsparseL12csrilu0_hashILj256ELj32ELj4E21rocsparse_complex_numIdEEEviPKiS4_PT2_S4_PiS4_S7_S7_d21rocsparse_index_base_imNS_24const_host_device_scalarIfEENS9_IdEENS9_IS5_EEb,"axG",@progbits,_ZN9rocsparseL12csrilu0_hashILj256ELj32ELj4E21rocsparse_complex_numIdEEEviPKiS4_PT2_S4_PiS4_S7_S7_d21rocsparse_index_base_imNS_24const_host_device_scalarIfEENS9_IdEENS9_IS5_EEb,comdat
	.globl	_ZN9rocsparseL12csrilu0_hashILj256ELj32ELj4E21rocsparse_complex_numIdEEEviPKiS4_PT2_S4_PiS4_S7_S7_d21rocsparse_index_base_imNS_24const_host_device_scalarIfEENS9_IdEENS9_IS5_EEb ; -- Begin function _ZN9rocsparseL12csrilu0_hashILj256ELj32ELj4E21rocsparse_complex_numIdEEEviPKiS4_PT2_S4_PiS4_S7_S7_d21rocsparse_index_base_imNS_24const_host_device_scalarIfEENS9_IdEENS9_IS5_EEb
	.p2align	8
	.type	_ZN9rocsparseL12csrilu0_hashILj256ELj32ELj4E21rocsparse_complex_numIdEEEviPKiS4_PT2_S4_PiS4_S7_S7_d21rocsparse_index_base_imNS_24const_host_device_scalarIfEENS9_IdEENS9_IS5_EEb,@function
_ZN9rocsparseL12csrilu0_hashILj256ELj32ELj4E21rocsparse_complex_numIdEEEviPKiS4_PT2_S4_PiS4_S7_S7_d21rocsparse_index_base_imNS_24const_host_device_scalarIfEENS9_IdEENS9_IS5_EEb: ; @_ZN9rocsparseL12csrilu0_hashILj256ELj32ELj4E21rocsparse_complex_numIdEEEviPKiS4_PT2_S4_PiS4_S7_S7_d21rocsparse_index_base_imNS_24const_host_device_scalarIfEENS9_IdEENS9_IS5_EEb
; %bb.0:
	s_add_u32 s6, s6, s9
	s_addc_u32 s7, s7, 0
	s_setreg_b32 hwreg(HW_REG_FLAT_SCR_LO), s6
	s_setreg_b32 hwreg(HW_REG_FLAT_SCR_HI), s7
	s_add_u32 s0, s0, s9
	s_clause 0x3
	s_load_dword s9, s[4:5], 0x80
	s_load_dwordx2 s[34:35], s[4:5], 0x50
	s_load_dwordx8 s[24:31], s[4:5], 0x58
	s_load_dwordx2 s[6:7], s[4:5], 0x78
	s_addc_u32 s1, s1, 0
	s_waitcnt lgkmcnt(0)
	s_bitcmp1_b32 s9, 0
	s_cselect_b32 s9, -1, 0
	s_cmp_eq_u32 s35, 0
	v_mov_b32_e32 v1, s31
	s_cselect_b32 s14, -1, 0
	s_cmp_lg_u32 s35, 0
	v_mov_b32_e32 v2, s30
	s_cselect_b32 s12, -1, 0
	s_or_b32 s15, s14, s9
	buffer_store_dword v1, off, s[0:3], 0 offset:4
	s_xor_b32 s13, s15, -1
	s_and_b32 s10, s14, exec_lo
	s_cselect_b32 s11, 0, s29
	s_cselect_b32 s10, 0, s28
	s_and_b32 vcc_lo, exec_lo, s15
	buffer_store_dword v2, off, s[0:3], 0
	s_cbranch_vccnz .LBB42_2
; %bb.1:
	s_load_dword s10, s[26:27], 0x0
	s_waitcnt lgkmcnt(0)
	v_mov_b32_e32 v25, s10
	s_mov_b64 s[10:11], s[28:29]
	v_mov_b32_e32 v16, s11
	v_mov_b32_e32 v15, s10
	s_andn2_b32 vcc_lo, exec_lo, s13
	s_cbranch_vccz .LBB42_3
	s_branch .LBB42_4
.LBB42_2:
	v_cndmask_b32_e64 v25, s26, 0, s14
	v_mov_b32_e32 v16, s11
	v_mov_b32_e32 v15, s10
	s_andn2_b32 vcc_lo, exec_lo, s13
	s_cbranch_vccnz .LBB42_4
.LBB42_3:
	v_mov_b32_e32 v1, s28
	v_mov_b32_e32 v2, s29
	flat_load_dwordx2 v[15:16], v[1:2]
.LBB42_4:
	v_mov_b32_e32 v3, 0
	v_mov_b32_e32 v1, 0
	v_cndmask_b32_e64 v26, 0, 1, s12
	v_mov_b32_e32 v4, 0
	v_mov_b32_e32 v2, 0
	s_andn2_b32 vcc_lo, exec_lo, s12
	s_cbranch_vccnz .LBB42_7
; %bb.5:
	s_mov_b64 s[10:11], src_private_base
	s_xor_b32 s10, s9, -1
	s_and_b32 s9, s9, exec_lo
	s_cselect_b32 s9, 0, s30
	s_cselect_b32 s11, s11, s31
	v_mov_b32_e32 v1, s9
	v_mov_b32_e32 v2, s11
	v_mov_b32_e32 v3, s6
	v_mov_b32_e32 v4, s7
	s_andn2_b32 vcc_lo, exec_lo, s10
	flat_load_dwordx2 v[1:2], v[1:2]
	s_cbranch_vccnz .LBB42_7
; %bb.6:
	v_mov_b32_e32 v3, s30
	v_mov_b32_e32 v4, s31
	flat_load_dwordx2 v[3:4], v[3:4] offset:8
.LBB42_7:
	v_lshrrev_b32_e32 v5, 5, v0
	v_and_b32_e32 v24, 31, v0
	s_mov_b32 s6, 0
	v_lshlrev_b32_e32 v7, 9, v5
	v_lshlrev_b32_e32 v8, 2, v24
	v_or_b32_e32 v6, 0xffffffe0, v24
	v_or3_b32 v7, v7, v8, 0x1000
	v_mov_b32_e32 v8, -1
.LBB42_8:                               ; =>This Inner Loop Header: Depth=1
	v_add_nc_u32_e32 v6, 32, v6
	ds_write_b32 v7, v8
	v_add_nc_u32_e32 v7, 0x80, v7
	v_cmp_lt_u32_e32 vcc_lo, 0x5f, v6
	s_or_b32 s6, vcc_lo, s6
	s_andn2_b32 exec_lo, exec_lo, s6
	s_cbranch_execnz .LBB42_8
; %bb.9:
	s_or_b32 exec_lo, exec_lo, s6
	s_load_dword s6, s[4:5], 0x0
	s_lshl_b32 s7, s8, 3
	s_waitcnt vmcnt(0) lgkmcnt(0)
	s_waitcnt_vscnt null, 0x0
	buffer_gl0_inv
	v_and_or_b32 v5, 0x7fffff8, s7, v5
	v_cmp_gt_i32_e32 vcc_lo, s6, v5
	s_and_saveexec_b32 s6, vcc_lo
	s_cbranch_execz .LBB42_87
; %bb.10:
	s_load_dwordx16 s[8:23], s[4:5], 0x8
	v_lshlrev_b32_e32 v5, 2, v5
	v_lshlrev_b32_e32 v0, 4, v0
	s_mov_b32 s6, exec_lo
	v_and_b32_e32 v0, 0xe00, v0
	v_or_b32_e32 v27, 0x1000, v0
	s_waitcnt lgkmcnt(0)
	global_load_dword v17, v5, s[18:19]
	s_waitcnt vmcnt(0)
	v_ashrrev_i32_e32 v18, 31, v17
	v_lshlrev_b64 v[13:14], 2, v[17:18]
	v_add_co_u32 v5, vcc_lo, s8, v13
	v_add_co_ci_u32_e64 v6, null, s9, v14, vcc_lo
	v_add_co_u32 v7, vcc_lo, s14, v13
	v_add_co_ci_u32_e64 v8, null, s15, v14, vcc_lo
	global_load_dwordx2 v[5:6], v[5:6], off
	global_load_dword v18, v[7:8], off
	s_waitcnt vmcnt(1)
	v_subrev_nc_u32_e32 v19, s34, v5
	v_subrev_nc_u32_e32 v7, s34, v6
	v_add_nc_u32_e32 v5, v19, v24
	v_cmpx_lt_i32_e64 v5, v7
	s_cbranch_execz .LBB42_33
; %bb.11:
	v_mov_b32_e32 v8, -1
	s_mov_b32 s7, 0
	s_branch .LBB42_13
.LBB42_12:                              ;   in Loop: Header=BB42_13 Depth=1
	s_or_b32 exec_lo, exec_lo, s18
	v_add_nc_u32_e32 v5, 32, v5
	v_cmp_ge_i32_e32 vcc_lo, v5, v7
	s_or_b32 s7, vcc_lo, s7
	s_andn2_b32 exec_lo, exec_lo, s7
	s_cbranch_execz .LBB42_33
.LBB42_13:                              ; =>This Loop Header: Depth=1
                                        ;     Child Loop BB42_22 Depth 2
	v_ashrrev_i32_e32 v6, 31, v5
	s_mov_b32 s18, 0
                                        ; implicit-def: $sgpr19
                                        ; implicit-def: $sgpr26
                                        ; implicit-def: $sgpr27
	v_lshlrev_b64 v[9:10], 2, v[5:6]
	v_add_co_u32 v9, vcc_lo, s10, v9
	v_add_co_ci_u32_e64 v10, null, s11, v10, vcc_lo
	global_load_dword v6, v[9:10], off
	v_mov_b32_e32 v9, 0x80
	s_waitcnt vmcnt(0)
	v_mul_lo_u32 v11, 0x67, v6
	s_branch .LBB42_22
.LBB42_14:                              ;   in Loop: Header=BB42_22 Depth=2
	s_or_b32 exec_lo, exec_lo, s39
	s_orn2_b32 s37, s37, exec_lo
	s_orn2_b32 s38, s38, exec_lo
.LBB42_15:                              ;   in Loop: Header=BB42_22 Depth=2
	s_or_b32 exec_lo, exec_lo, s36
	s_and_b32 s37, s37, exec_lo
	s_orn2_b32 s36, s38, exec_lo
.LBB42_16:                              ;   in Loop: Header=BB42_22 Depth=2
	s_or_b32 exec_lo, exec_lo, s35
	s_orn2_b32 s35, s37, exec_lo
	s_orn2_b32 s36, s36, exec_lo
.LBB42_17:                              ;   in Loop: Header=BB42_22 Depth=2
	s_or_b32 exec_lo, exec_lo, s33
	s_and_b32 s35, s35, exec_lo
	s_orn2_b32 s33, s36, exec_lo
.LBB42_18:                              ;   in Loop: Header=BB42_22 Depth=2
	s_or_b32 exec_lo, exec_lo, s31
	s_orn2_b32 s31, s35, exec_lo
	s_orn2_b32 s33, s33, exec_lo
.LBB42_19:                              ;   in Loop: Header=BB42_22 Depth=2
	s_or_b32 exec_lo, exec_lo, s30
	s_and_b32 s31, s31, exec_lo
	s_orn2_b32 s30, s33, exec_lo
.LBB42_20:                              ;   in Loop: Header=BB42_22 Depth=2
	s_or_b32 exec_lo, exec_lo, s29
	s_andn2_b32 s27, s27, exec_lo
	s_and_b32 s29, s31, exec_lo
	s_andn2_b32 s26, s26, exec_lo
	s_and_b32 s30, s30, exec_lo
	s_or_b32 s27, s27, s29
	s_or_b32 s26, s26, s30
.LBB42_21:                              ;   in Loop: Header=BB42_22 Depth=2
	s_or_b32 exec_lo, exec_lo, s28
	s_and_b32 s28, exec_lo, s26
	s_or_b32 s18, s28, s18
	s_andn2_b32 s19, s19, exec_lo
	s_and_b32 s28, s27, exec_lo
	s_or_b32 s19, s19, s28
	s_andn2_b32 exec_lo, exec_lo, s18
	s_cbranch_execz .LBB42_31
.LBB42_22:                              ;   Parent Loop BB42_13 Depth=1
                                        ; =>  This Inner Loop Header: Depth=2
	v_and_b32_e32 v10, 0x7f, v11
	s_or_b32 s27, s27, exec_lo
	s_or_b32 s26, s26, exec_lo
	s_mov_b32 s28, exec_lo
	v_lshl_add_u32 v12, v10, 2, v27
	ds_read_b32 v20, v12
	s_waitcnt lgkmcnt(0)
	v_cmpx_ne_u32_e64 v20, v6
	s_cbranch_execz .LBB42_21
; %bb.23:                               ;   in Loop: Header=BB42_22 Depth=2
	ds_cmpst_rtn_b32 v12, v12, v8, v6
	s_mov_b32 s30, -1
	s_mov_b32 s31, 0
	s_mov_b32 s29, exec_lo
	s_waitcnt lgkmcnt(0)
	v_cmpx_ne_u32_e32 -1, v12
	s_cbranch_execz .LBB42_20
; %bb.24:                               ;   in Loop: Header=BB42_22 Depth=2
	v_add_nc_u32_e32 v10, 1, v11
	s_mov_b32 s33, -1
	s_mov_b32 s31, -1
	s_mov_b32 s30, exec_lo
	v_and_b32_e32 v10, 0x7f, v10
	v_lshl_add_u32 v12, v10, 2, v27
	ds_read_b32 v20, v12
	s_waitcnt lgkmcnt(0)
	v_cmpx_ne_u32_e64 v20, v6
	s_cbranch_execz .LBB42_19
; %bb.25:                               ;   in Loop: Header=BB42_22 Depth=2
	ds_cmpst_rtn_b32 v12, v12, v8, v6
	s_mov_b32 s35, 0
	s_mov_b32 s31, exec_lo
	s_waitcnt lgkmcnt(0)
	v_cmpx_ne_u32_e32 -1, v12
	s_cbranch_execz .LBB42_18
; %bb.26:                               ;   in Loop: Header=BB42_22 Depth=2
	v_add_nc_u32_e32 v10, 2, v11
	s_mov_b32 s36, -1
	s_mov_b32 s35, -1
	s_mov_b32 s33, exec_lo
	v_and_b32_e32 v10, 0x7f, v10
	v_lshl_add_u32 v12, v10, 2, v27
	ds_read_b32 v20, v12
	s_waitcnt lgkmcnt(0)
	v_cmpx_ne_u32_e64 v20, v6
	s_cbranch_execz .LBB42_17
; %bb.27:                               ;   in Loop: Header=BB42_22 Depth=2
	ds_cmpst_rtn_b32 v12, v12, v8, v6
	s_mov_b32 s37, 0
	s_mov_b32 s35, exec_lo
	s_waitcnt lgkmcnt(0)
	v_cmpx_ne_u32_e32 -1, v12
	s_cbranch_execz .LBB42_16
; %bb.28:                               ;   in Loop: Header=BB42_22 Depth=2
	v_add_nc_u32_e32 v10, 3, v11
	s_mov_b32 s38, -1
	s_mov_b32 s37, -1
	v_and_b32_e32 v10, 0x7f, v10
	v_lshl_add_u32 v12, v10, 2, v27
	ds_read_b32 v11, v12
	s_waitcnt lgkmcnt(0)
	v_cmp_ne_u32_e32 vcc_lo, v11, v6
                                        ; implicit-def: $vgpr11
	s_and_saveexec_b32 s36, vcc_lo
	s_cbranch_execz .LBB42_15
; %bb.29:                               ;   in Loop: Header=BB42_22 Depth=2
	ds_cmpst_rtn_b32 v11, v12, v8, v6
	s_mov_b32 s37, 0
	s_waitcnt lgkmcnt(0)
	v_cmp_ne_u32_e32 vcc_lo, -1, v11
                                        ; implicit-def: $vgpr11
	s_and_saveexec_b32 s39, vcc_lo
	s_cbranch_execz .LBB42_14
; %bb.30:                               ;   in Loop: Header=BB42_22 Depth=2
	v_add_nc_u32_e32 v9, -4, v9
	v_add_nc_u32_e32 v11, 1, v10
	s_mov_b32 s37, exec_lo
	v_cmp_eq_u32_e32 vcc_lo, 0, v9
	s_orn2_b32 s38, vcc_lo, exec_lo
	s_branch .LBB42_14
.LBB42_31:                              ;   in Loop: Header=BB42_13 Depth=1
	s_or_b32 exec_lo, exec_lo, s18
	s_xor_b32 s18, s19, -1
	s_and_saveexec_b32 s19, s18
	s_xor_b32 s18, exec_lo, s19
	s_cbranch_execz .LBB42_12
; %bb.32:                               ;   in Loop: Header=BB42_13 Depth=1
	v_lshl_add_u32 v6, v10, 2, v0
	ds_write_b32 v6, v5
	s_branch .LBB42_12
.LBB42_33:
	s_or_b32 exec_lo, exec_lo, s6
	s_mov_b32 s7, exec_lo
	s_waitcnt vmcnt(0) lgkmcnt(0)
	buffer_gl0_inv
	v_cmpx_lt_i32_e64 v19, v18
	s_cbranch_execz .LBB42_63
; %bb.34:
	v_add_nc_u32_e32 v28, 1, v24
	s_mov_b32 s18, 0
	s_branch .LBB42_37
.LBB42_35:                              ;   in Loop: Header=BB42_37 Depth=1
	s_or_b32 exec_lo, exec_lo, s19
	v_add_nc_u32_e32 v19, 1, v19
	v_cmp_ge_i32_e32 vcc_lo, v19, v18
	s_orn2_b32 s19, vcc_lo, exec_lo
.LBB42_36:                              ;   in Loop: Header=BB42_37 Depth=1
	s_or_b32 exec_lo, exec_lo, s6
	s_and_b32 s6, exec_lo, s19
	s_or_b32 s18, s6, s18
	s_andn2_b32 exec_lo, exec_lo, s18
	s_cbranch_execz .LBB42_63
.LBB42_37:                              ; =>This Loop Header: Depth=1
                                        ;     Child Loop BB42_38 Depth 2
                                        ;     Child Loop BB42_43 Depth 2
                                        ;       Child Loop BB42_52 Depth 3
	v_ashrrev_i32_e32 v20, 31, v19
	s_mov_b32 s6, 0
	v_lshlrev_b64 v[5:6], 2, v[19:20]
	v_lshlrev_b64 v[7:8], 4, v[19:20]
	v_add_co_u32 v5, vcc_lo, s10, v5
	v_add_co_ci_u32_e64 v6, null, s11, v6, vcc_lo
	v_add_co_u32 v20, vcc_lo, s12, v7
	v_add_co_ci_u32_e64 v21, null, s13, v8, vcc_lo
	global_load_dword v5, v[5:6], off
	s_waitcnt vmcnt(0)
	v_subrev_nc_u32_e32 v5, s34, v5
	v_ashrrev_i32_e32 v6, 31, v5
	v_lshlrev_b64 v[9:10], 2, v[5:6]
	v_add_co_u32 v11, vcc_lo, s8, v9
	v_add_co_ci_u32_e64 v12, null, s9, v10, vcc_lo
	v_add_co_u32 v22, vcc_lo, s14, v9
	v_add_co_ci_u32_e64 v23, null, s15, v10, vcc_lo
	global_load_dwordx4 v[5:8], v[20:21], off
	global_load_dword v11, v[11:12], off offset:4
	global_load_dword v12, v[22:23], off
	v_add_co_u32 v9, vcc_lo, s16, v9
	v_add_co_ci_u32_e64 v10, null, s17, v10, vcc_lo
.LBB42_38:                              ;   Parent Loop BB42_37 Depth=1
                                        ; =>  This Inner Loop Header: Depth=2
	global_load_dword v22, v[9:10], off glc dlc
	s_waitcnt vmcnt(0)
	v_cmp_ne_u32_e32 vcc_lo, 0, v22
	s_or_b32 s6, vcc_lo, s6
	s_andn2_b32 exec_lo, exec_lo, s6
	s_cbranch_execnz .LBB42_38
; %bb.39:                               ;   in Loop: Header=BB42_37 Depth=1
	s_or_b32 exec_lo, exec_lo, s6
	v_subrev_nc_u32_e32 v29, s34, v11
	v_cmp_eq_u32_e32 vcc_lo, -1, v12
	buffer_gl1_inv
	buffer_gl0_inv
	s_mov_b32 s19, -1
	v_add_nc_u32_e32 v9, -1, v29
	v_cndmask_b32_e32 v22, v12, v9, vcc_lo
	v_ashrrev_i32_e32 v23, 31, v22
	v_lshlrev_b64 v[9:10], 4, v[22:23]
	v_add_co_u32 v9, vcc_lo, s12, v9
	v_add_co_ci_u32_e64 v10, null, s13, v10, vcc_lo
	global_load_dwordx4 v[9:12], v[9:10], off
	s_waitcnt vmcnt(0)
	v_cmp_neq_f64_e32 vcc_lo, 0, v[9:10]
	v_cmp_neq_f64_e64 s6, 0, v[11:12]
	s_or_b32 s26, vcc_lo, s6
	s_and_saveexec_b32 s6, s26
	s_cbranch_execz .LBB42_36
; %bb.40:                               ;   in Loop: Header=BB42_37 Depth=1
	v_mul_f64 v[30:31], v[11:12], v[11:12]
	s_mov_b32 s19, exec_lo
	v_fma_f64 v[30:31], v[9:10], v[9:10], v[30:31]
	v_div_scale_f64 v[32:33], null, v[30:31], v[30:31], 1.0
	v_div_scale_f64 v[38:39], vcc_lo, 1.0, v[30:31], 1.0
	v_rcp_f64_e32 v[34:35], v[32:33]
	v_fma_f64 v[36:37], -v[32:33], v[34:35], 1.0
	v_fma_f64 v[34:35], v[34:35], v[36:37], v[34:35]
	v_fma_f64 v[36:37], -v[32:33], v[34:35], 1.0
	v_fma_f64 v[34:35], v[34:35], v[36:37], v[34:35]
	v_mul_f64 v[36:37], v[38:39], v[34:35]
	v_fma_f64 v[32:33], -v[32:33], v[36:37], v[38:39]
	v_mul_f64 v[38:39], v[7:8], v[11:12]
	v_mul_f64 v[11:12], v[11:12], -v[5:6]
	v_div_fmas_f64 v[32:33], v[32:33], v[34:35], v[36:37]
	v_fma_f64 v[5:6], v[5:6], v[9:10], v[38:39]
	v_fma_f64 v[7:8], v[7:8], v[9:10], v[11:12]
	v_add_nc_u32_e32 v9, v28, v22
	v_div_fixup_f64 v[30:31], v[32:33], v[30:31], 1.0
	v_mul_f64 v[5:6], v[5:6], v[30:31]
	v_mul_f64 v[7:8], v[7:8], v[30:31]
	global_store_dwordx4 v[20:21], v[5:8], off
	v_cmpx_lt_i32_e64 v9, v29
	s_cbranch_execz .LBB42_35
; %bb.41:                               ;   in Loop: Header=BB42_37 Depth=1
	s_mov_b32 s26, 0
	s_branch .LBB42_43
.LBB42_42:                              ;   in Loop: Header=BB42_43 Depth=2
	s_or_b32 exec_lo, exec_lo, s27
	v_add_nc_u32_e32 v9, 32, v9
	v_cmp_ge_i32_e32 vcc_lo, v9, v29
	s_or_b32 s26, vcc_lo, s26
	s_andn2_b32 exec_lo, exec_lo, s26
	s_cbranch_execz .LBB42_35
.LBB42_43:                              ;   Parent Loop BB42_37 Depth=1
                                        ; =>  This Loop Header: Depth=2
                                        ;       Child Loop BB42_52 Depth 3
	v_ashrrev_i32_e32 v10, 31, v9
	s_mov_b32 s27, 0
                                        ; implicit-def: $sgpr28
                                        ; implicit-def: $sgpr29
                                        ; implicit-def: $sgpr30
	v_lshlrev_b64 v[11:12], 2, v[9:10]
	v_add_co_u32 v11, vcc_lo, s10, v11
	v_add_co_ci_u32_e64 v12, null, s11, v12, vcc_lo
	global_load_dword v11, v[11:12], off
	v_mov_b32_e32 v12, 0x80
	s_waitcnt vmcnt(0)
	v_mul_lo_u32 v21, 0x67, v11
	s_branch .LBB42_52
.LBB42_44:                              ;   in Loop: Header=BB42_52 Depth=3
	s_or_b32 exec_lo, exec_lo, s42
	s_orn2_b32 s40, s40, exec_lo
	s_orn2_b32 s41, s41, exec_lo
.LBB42_45:                              ;   in Loop: Header=BB42_52 Depth=3
	s_or_b32 exec_lo, exec_lo, s39
	s_and_b32 s40, s40, exec_lo
	s_orn2_b32 s39, s41, exec_lo
.LBB42_46:                              ;   in Loop: Header=BB42_52 Depth=3
	s_or_b32 exec_lo, exec_lo, s38
	s_orn2_b32 s38, s40, exec_lo
	s_orn2_b32 s39, s39, exec_lo
.LBB42_47:                              ;   in Loop: Header=BB42_52 Depth=3
	s_or_b32 exec_lo, exec_lo, s37
	s_and_b32 s38, s38, exec_lo
	s_orn2_b32 s37, s39, exec_lo
.LBB42_48:                              ;   in Loop: Header=BB42_52 Depth=3
	s_or_b32 exec_lo, exec_lo, s36
	s_orn2_b32 s36, s38, exec_lo
	s_orn2_b32 s37, s37, exec_lo
.LBB42_49:                              ;   in Loop: Header=BB42_52 Depth=3
	s_or_b32 exec_lo, exec_lo, s35
	s_and_b32 s36, s36, exec_lo
	s_orn2_b32 s35, s37, exec_lo
.LBB42_50:                              ;   in Loop: Header=BB42_52 Depth=3
	s_or_b32 exec_lo, exec_lo, s33
	s_andn2_b32 s30, s30, exec_lo
	s_and_b32 s33, s36, exec_lo
	s_andn2_b32 s29, s29, exec_lo
	s_and_b32 s35, s35, exec_lo
	s_or_b32 s30, s30, s33
	s_or_b32 s29, s29, s35
.LBB42_51:                              ;   in Loop: Header=BB42_52 Depth=3
	s_or_b32 exec_lo, exec_lo, s31
	s_and_b32 s31, exec_lo, s29
	s_or_b32 s27, s31, s27
	s_andn2_b32 s28, s28, exec_lo
	s_and_b32 s31, s30, exec_lo
	s_or_b32 s28, s28, s31
	s_andn2_b32 exec_lo, exec_lo, s27
	s_cbranch_execz .LBB42_61
.LBB42_52:                              ;   Parent Loop BB42_37 Depth=1
                                        ;     Parent Loop BB42_43 Depth=2
                                        ; =>    This Inner Loop Header: Depth=3
	v_and_b32_e32 v20, 0x7f, v21
	s_or_b32 s30, s30, exec_lo
	s_or_b32 s29, s29, exec_lo
	s_mov_b32 s31, exec_lo
	v_lshl_add_u32 v22, v20, 2, v27
	ds_read_b32 v22, v22
	s_waitcnt lgkmcnt(0)
	v_cmpx_ne_u32_e32 -1, v22
	s_cbranch_execz .LBB42_51
; %bb.53:                               ;   in Loop: Header=BB42_52 Depth=3
	s_mov_b32 s35, -1
	s_mov_b32 s36, 0
	s_mov_b32 s33, exec_lo
	v_cmpx_ne_u32_e64 v22, v11
	s_cbranch_execz .LBB42_50
; %bb.54:                               ;   in Loop: Header=BB42_52 Depth=3
	v_add_nc_u32_e32 v20, 1, v21
	s_mov_b32 s37, -1
	s_mov_b32 s36, -1
	s_mov_b32 s35, exec_lo
	v_and_b32_e32 v20, 0x7f, v20
	v_lshl_add_u32 v22, v20, 2, v27
	ds_read_b32 v22, v22
	s_waitcnt lgkmcnt(0)
	v_cmpx_ne_u32_e32 -1, v22
	s_cbranch_execz .LBB42_49
; %bb.55:                               ;   in Loop: Header=BB42_52 Depth=3
	s_mov_b32 s38, 0
	s_mov_b32 s36, exec_lo
	v_cmpx_ne_u32_e64 v22, v11
	s_cbranch_execz .LBB42_48
; %bb.56:                               ;   in Loop: Header=BB42_52 Depth=3
	v_add_nc_u32_e32 v20, 2, v21
	s_mov_b32 s39, -1
	s_mov_b32 s38, -1
	s_mov_b32 s37, exec_lo
	v_and_b32_e32 v20, 0x7f, v20
	v_lshl_add_u32 v22, v20, 2, v27
	ds_read_b32 v22, v22
	s_waitcnt lgkmcnt(0)
	v_cmpx_ne_u32_e32 -1, v22
	s_cbranch_execz .LBB42_47
; %bb.57:                               ;   in Loop: Header=BB42_52 Depth=3
	s_mov_b32 s40, 0
	s_mov_b32 s38, exec_lo
	v_cmpx_ne_u32_e64 v22, v11
	s_cbranch_execz .LBB42_46
; %bb.58:                               ;   in Loop: Header=BB42_52 Depth=3
	v_add_nc_u32_e32 v20, 3, v21
	s_mov_b32 s41, -1
	s_mov_b32 s40, -1
	s_mov_b32 s39, exec_lo
	v_and_b32_e32 v20, 0x7f, v20
	v_lshl_add_u32 v21, v20, 2, v27
	ds_read_b32 v22, v21
                                        ; implicit-def: $vgpr21
	s_waitcnt lgkmcnt(0)
	v_cmpx_ne_u32_e32 -1, v22
	s_cbranch_execz .LBB42_45
; %bb.59:                               ;   in Loop: Header=BB42_52 Depth=3
	s_mov_b32 s40, 0
	s_mov_b32 s42, exec_lo
                                        ; implicit-def: $vgpr21
	v_cmpx_ne_u32_e64 v22, v11
	s_cbranch_execz .LBB42_44
; %bb.60:                               ;   in Loop: Header=BB42_52 Depth=3
	v_add_nc_u32_e32 v12, -4, v12
	v_add_nc_u32_e32 v21, 1, v20
	s_mov_b32 s40, exec_lo
	v_cmp_eq_u32_e32 vcc_lo, 0, v12
	s_orn2_b32 s41, vcc_lo, exec_lo
	s_branch .LBB42_44
.LBB42_61:                              ;   in Loop: Header=BB42_43 Depth=2
	s_or_b32 exec_lo, exec_lo, s27
	s_xor_b32 s27, s28, -1
	s_and_saveexec_b32 s28, s27
	s_xor_b32 s27, exec_lo, s28
	s_cbranch_execz .LBB42_42
; %bb.62:                               ;   in Loop: Header=BB42_43 Depth=2
	v_lshl_add_u32 v11, v20, 2, v0
	v_lshlrev_b64 v[20:21], 4, v[9:10]
	ds_read_b32 v11, v11
	v_add_co_u32 v20, vcc_lo, s12, v20
	v_add_co_ci_u32_e64 v21, null, s13, v21, vcc_lo
	s_waitcnt lgkmcnt(0)
	v_ashrrev_i32_e32 v12, 31, v11
	v_lshlrev_b64 v[10:11], 4, v[11:12]
	v_add_co_u32 v10, vcc_lo, s12, v10
	v_add_co_ci_u32_e64 v11, null, s13, v11, vcc_lo
	s_clause 0x1
	global_load_dwordx4 v[20:23], v[20:21], off
	global_load_dwordx4 v[30:33], v[10:11], off
	s_waitcnt vmcnt(0)
	v_fma_f64 v[30:31], -v[5:6], v[20:21], v[30:31]
	v_fma_f64 v[32:33], -v[7:8], v[20:21], v[32:33]
	v_fma_f64 v[20:21], v[7:8], v[22:23], v[30:31]
	v_fma_f64 v[22:23], -v[5:6], v[22:23], v[32:33]
	global_store_dwordx4 v[10:11], v[20:23], off
	s_branch .LBB42_42
.LBB42_63:
	s_or_b32 exec_lo, exec_lo, s7
	s_mov_b32 s7, exec_lo
	s_waitcnt_vscnt null, 0x0
	buffer_gl0_inv
	v_cmpx_lt_i32_e32 -1, v18
	s_cbranch_execz .LBB42_85
; %bb.64:
	v_mov_b32_e32 v19, 0
	s_mov_b32 s6, exec_lo
	v_lshlrev_b64 v[5:6], 4, v[18:19]
	v_add_co_u32 v9, vcc_lo, s12, v5
	v_add_co_ci_u32_e64 v10, null, s13, v6, vcc_lo
	global_load_dwordx4 v[5:8], v[9:10], off
	s_waitcnt vmcnt(0)
	v_cmp_gt_f64_e32 vcc_lo, 0, v[5:6]
	v_xor_b32_e32 v0, 0x80000000, v6
	v_xor_b32_e32 v18, 0x80000000, v8
	v_mov_b32_e32 v11, v5
	v_mov_b32_e32 v20, v7
	v_cndmask_b32_e32 v12, v6, v0, vcc_lo
	v_cmp_gt_f64_e32 vcc_lo, 0, v[7:8]
	v_cndmask_b32_e32 v21, v8, v18, vcc_lo
                                        ; implicit-def: $vgpr18_vgpr19
	v_cmpx_ngt_f64_e32 v[11:12], v[20:21]
	s_xor_b32 s6, exec_lo, s6
	s_cbranch_execz .LBB42_68
; %bb.65:
	v_mov_b32_e32 v18, 0
	v_mov_b32_e32 v19, 0
	s_mov_b32 s8, exec_lo
	v_cmpx_neq_f64_e32 0, v[7:8]
	s_cbranch_execz .LBB42_67
; %bb.66:
	v_div_scale_f64 v[18:19], null, v[20:21], v[20:21], v[11:12]
	v_div_scale_f64 v[29:30], vcc_lo, v[11:12], v[20:21], v[11:12]
	v_rcp_f64_e32 v[22:23], v[18:19]
	v_fma_f64 v[27:28], -v[18:19], v[22:23], 1.0
	v_fma_f64 v[22:23], v[22:23], v[27:28], v[22:23]
	v_fma_f64 v[27:28], -v[18:19], v[22:23], 1.0
	v_fma_f64 v[22:23], v[22:23], v[27:28], v[22:23]
	v_mul_f64 v[27:28], v[29:30], v[22:23]
	v_fma_f64 v[18:19], -v[18:19], v[27:28], v[29:30]
	v_div_fmas_f64 v[18:19], v[18:19], v[22:23], v[27:28]
	v_div_fixup_f64 v[11:12], v[18:19], v[20:21], v[11:12]
	v_fma_f64 v[11:12], v[11:12], v[11:12], 1.0
	v_cmp_gt_f64_e32 vcc_lo, 0x10000000, v[11:12]
	v_cndmask_b32_e64 v0, 0, 0x100, vcc_lo
	v_ldexp_f64 v[11:12], v[11:12], v0
	v_cndmask_b32_e64 v0, 0, 0xffffff80, vcc_lo
	v_rsq_f64_e32 v[18:19], v[11:12]
	v_cmp_class_f64_e64 vcc_lo, v[11:12], 0x260
	v_mul_f64 v[22:23], v[11:12], v[18:19]
	v_mul_f64 v[18:19], v[18:19], 0.5
	v_fma_f64 v[27:28], -v[18:19], v[22:23], 0.5
	v_fma_f64 v[22:23], v[22:23], v[27:28], v[22:23]
	v_fma_f64 v[18:19], v[18:19], v[27:28], v[18:19]
	v_fma_f64 v[27:28], -v[22:23], v[22:23], v[11:12]
	v_fma_f64 v[22:23], v[27:28], v[18:19], v[22:23]
	v_fma_f64 v[27:28], -v[22:23], v[22:23], v[11:12]
	v_fma_f64 v[18:19], v[27:28], v[18:19], v[22:23]
	v_ldexp_f64 v[18:19], v[18:19], v0
	v_cndmask_b32_e32 v12, v19, v12, vcc_lo
	v_cndmask_b32_e32 v11, v18, v11, vcc_lo
	v_mul_f64 v[18:19], v[20:21], v[11:12]
.LBB42_67:
	s_or_b32 exec_lo, exec_lo, s8
                                        ; implicit-def: $vgpr11_vgpr12
                                        ; implicit-def: $vgpr20_vgpr21
.LBB42_68:
	s_andn2_saveexec_b32 s6, s6
	s_cbranch_execz .LBB42_70
; %bb.69:
	v_div_scale_f64 v[18:19], null, v[11:12], v[11:12], v[20:21]
	v_div_scale_f64 v[29:30], vcc_lo, v[20:21], v[11:12], v[20:21]
	v_rcp_f64_e32 v[22:23], v[18:19]
	v_fma_f64 v[27:28], -v[18:19], v[22:23], 1.0
	v_fma_f64 v[22:23], v[22:23], v[27:28], v[22:23]
	v_fma_f64 v[27:28], -v[18:19], v[22:23], 1.0
	v_fma_f64 v[22:23], v[22:23], v[27:28], v[22:23]
	v_mul_f64 v[27:28], v[29:30], v[22:23]
	v_fma_f64 v[18:19], -v[18:19], v[27:28], v[29:30]
	v_div_fmas_f64 v[18:19], v[18:19], v[22:23], v[27:28]
	v_div_fixup_f64 v[18:19], v[18:19], v[11:12], v[20:21]
	v_fma_f64 v[18:19], v[18:19], v[18:19], 1.0
	v_cmp_gt_f64_e32 vcc_lo, 0x10000000, v[18:19]
	v_cndmask_b32_e64 v0, 0, 0x100, vcc_lo
	v_ldexp_f64 v[18:19], v[18:19], v0
	v_cndmask_b32_e64 v0, 0, 0xffffff80, vcc_lo
	v_rsq_f64_e32 v[20:21], v[18:19]
	v_cmp_class_f64_e64 vcc_lo, v[18:19], 0x260
	v_mul_f64 v[22:23], v[18:19], v[20:21]
	v_mul_f64 v[20:21], v[20:21], 0.5
	v_fma_f64 v[27:28], -v[20:21], v[22:23], 0.5
	v_fma_f64 v[22:23], v[22:23], v[27:28], v[22:23]
	v_fma_f64 v[20:21], v[20:21], v[27:28], v[20:21]
	v_fma_f64 v[27:28], -v[22:23], v[22:23], v[18:19]
	v_fma_f64 v[22:23], v[27:28], v[20:21], v[22:23]
	v_fma_f64 v[27:28], -v[22:23], v[22:23], v[18:19]
	v_fma_f64 v[20:21], v[27:28], v[20:21], v[22:23]
	v_ldexp_f64 v[20:21], v[20:21], v0
	v_cndmask_b32_e32 v19, v21, v19, vcc_lo
	v_cndmask_b32_e32 v18, v20, v18, vcc_lo
	v_mul_f64 v[18:19], v[11:12], v[18:19]
.LBB42_70:
	s_or_b32 exec_lo, exec_lo, s6
	v_cmp_ne_u32_e32 vcc_lo, 1, v26
	v_cmp_eq_u32_e64 s6, 0, v24
	s_mov_b32 s8, -1
	s_cbranch_vccnz .LBB42_74
; %bb.71:
	v_cvt_f64_f32_e32 v[11:12], v25
	s_cmp_eq_u64 s[24:25], 8
	s_cselect_b32 vcc_lo, -1, 0
	v_cndmask_b32_e32 v12, v12, v16, vcc_lo
	v_cndmask_b32_e32 v11, v11, v15, vcc_lo
	v_cmp_le_f64_e32 vcc_lo, v[18:19], v[11:12]
	s_and_b32 s9, s6, vcc_lo
	s_and_saveexec_b32 s8, s9
	s_cbranch_execz .LBB42_73
; %bb.72:
	global_store_dwordx4 v[9:10], v[1:4], off
	s_waitcnt_vscnt null, 0x0
	buffer_gl1_inv
	buffer_gl0_inv
.LBB42_73:
	s_or_b32 exec_lo, exec_lo, s8
	s_mov_b32 s8, 0
.LBB42_74:
	s_andn2_b32 vcc_lo, exec_lo, s8
	s_cbranch_vccnz .LBB42_85
; %bb.75:
	s_load_dwordx2 s[4:5], s[4:5], 0x48
	v_add_nc_u32_e32 v0, s34, v17
	s_waitcnt lgkmcnt(0)
	v_cmp_ge_f64_e32 vcc_lo, s[4:5], v[18:19]
	s_and_b32 s5, s6, vcc_lo
	s_and_saveexec_b32 s4, s5
	s_cbranch_execz .LBB42_80
; %bb.76:
	s_mov_b32 s8, exec_lo
	s_brev_b32 s5, -2
.LBB42_77:                              ; =>This Inner Loop Header: Depth=1
	s_ff1_i32_b32 s9, s8
	v_readlane_b32 s10, v0, s9
	s_lshl_b32 s9, 1, s9
	s_andn2_b32 s8, s8, s9
	s_min_i32 s5, s5, s10
	s_cmp_lg_u32 s8, 0
	s_cbranch_scc1 .LBB42_77
; %bb.78:
	v_mbcnt_lo_u32_b32 v1, exec_lo, 0
	s_mov_b32 s8, exec_lo
	v_cmpx_eq_u32_e32 0, v1
	s_xor_b32 s8, exec_lo, s8
	s_cbranch_execz .LBB42_80
; %bb.79:
	v_mov_b32_e32 v1, 0
	v_mov_b32_e32 v2, s5
	global_atomic_smin v1, v2, s[22:23]
.LBB42_80:
	s_or_b32 exec_lo, exec_lo, s4
	v_cmp_eq_f64_e32 vcc_lo, 0, v[5:6]
	v_cmp_eq_f64_e64 s4, 0, v[7:8]
	s_and_b32 s4, vcc_lo, s4
	s_and_b32 s4, s6, s4
	s_and_b32 exec_lo, exec_lo, s4
	s_cbranch_execz .LBB42_85
; %bb.81:
	s_mov_b32 s5, exec_lo
	s_brev_b32 s4, -2
.LBB42_82:                              ; =>This Inner Loop Header: Depth=1
	s_ff1_i32_b32 s6, s5
	v_readlane_b32 s8, v0, s6
	s_lshl_b32 s6, 1, s6
	s_andn2_b32 s5, s5, s6
	s_min_i32 s4, s4, s8
	s_cmp_lg_u32 s5, 0
	s_cbranch_scc1 .LBB42_82
; %bb.83:
	v_mbcnt_lo_u32_b32 v0, exec_lo, 0
	s_mov_b32 s5, exec_lo
	v_cmpx_eq_u32_e32 0, v0
	s_xor_b32 s5, exec_lo, s5
	s_cbranch_execz .LBB42_85
; %bb.84:
	v_mov_b32_e32 v0, 0
	v_mov_b32_e32 v1, s4
	global_atomic_smin v0, v1, s[20:21]
.LBB42_85:
	s_or_b32 exec_lo, exec_lo, s7
	v_cmp_eq_u32_e32 vcc_lo, 0, v24
	s_waitcnt_vscnt null, 0x0
	buffer_gl1_inv
	buffer_gl0_inv
	s_and_b32 exec_lo, exec_lo, vcc_lo
	s_cbranch_execz .LBB42_87
; %bb.86:
	v_add_co_u32 v0, vcc_lo, s16, v13
	v_add_co_ci_u32_e64 v1, null, s17, v14, vcc_lo
	v_mov_b32_e32 v2, 1
	global_store_dword v[0:1], v2, off
.LBB42_87:
	s_endpgm
	.section	.rodata,"a",@progbits
	.p2align	6, 0x0
	.amdhsa_kernel _ZN9rocsparseL12csrilu0_hashILj256ELj32ELj4E21rocsparse_complex_numIdEEEviPKiS4_PT2_S4_PiS4_S7_S7_d21rocsparse_index_base_imNS_24const_host_device_scalarIfEENS9_IdEENS9_IS5_EEb
		.amdhsa_group_segment_fixed_size 8192
		.amdhsa_private_segment_fixed_size 16
		.amdhsa_kernarg_size 132
		.amdhsa_user_sgpr_count 8
		.amdhsa_user_sgpr_private_segment_buffer 1
		.amdhsa_user_sgpr_dispatch_ptr 0
		.amdhsa_user_sgpr_queue_ptr 0
		.amdhsa_user_sgpr_kernarg_segment_ptr 1
		.amdhsa_user_sgpr_dispatch_id 0
		.amdhsa_user_sgpr_flat_scratch_init 1
		.amdhsa_user_sgpr_private_segment_size 0
		.amdhsa_wavefront_size32 1
		.amdhsa_uses_dynamic_stack 0
		.amdhsa_system_sgpr_private_segment_wavefront_offset 1
		.amdhsa_system_sgpr_workgroup_id_x 1
		.amdhsa_system_sgpr_workgroup_id_y 0
		.amdhsa_system_sgpr_workgroup_id_z 0
		.amdhsa_system_sgpr_workgroup_info 0
		.amdhsa_system_vgpr_workitem_id 0
		.amdhsa_next_free_vgpr 40
		.amdhsa_next_free_sgpr 43
		.amdhsa_reserve_vcc 1
		.amdhsa_reserve_flat_scratch 1
		.amdhsa_float_round_mode_32 0
		.amdhsa_float_round_mode_16_64 0
		.amdhsa_float_denorm_mode_32 3
		.amdhsa_float_denorm_mode_16_64 3
		.amdhsa_dx10_clamp 1
		.amdhsa_ieee_mode 1
		.amdhsa_fp16_overflow 0
		.amdhsa_workgroup_processor_mode 1
		.amdhsa_memory_ordered 1
		.amdhsa_forward_progress 1
		.amdhsa_shared_vgpr_count 0
		.amdhsa_exception_fp_ieee_invalid_op 0
		.amdhsa_exception_fp_denorm_src 0
		.amdhsa_exception_fp_ieee_div_zero 0
		.amdhsa_exception_fp_ieee_overflow 0
		.amdhsa_exception_fp_ieee_underflow 0
		.amdhsa_exception_fp_ieee_inexact 0
		.amdhsa_exception_int_div_zero 0
	.end_amdhsa_kernel
	.section	.text._ZN9rocsparseL12csrilu0_hashILj256ELj32ELj4E21rocsparse_complex_numIdEEEviPKiS4_PT2_S4_PiS4_S7_S7_d21rocsparse_index_base_imNS_24const_host_device_scalarIfEENS9_IdEENS9_IS5_EEb,"axG",@progbits,_ZN9rocsparseL12csrilu0_hashILj256ELj32ELj4E21rocsparse_complex_numIdEEEviPKiS4_PT2_S4_PiS4_S7_S7_d21rocsparse_index_base_imNS_24const_host_device_scalarIfEENS9_IdEENS9_IS5_EEb,comdat
.Lfunc_end42:
	.size	_ZN9rocsparseL12csrilu0_hashILj256ELj32ELj4E21rocsparse_complex_numIdEEEviPKiS4_PT2_S4_PiS4_S7_S7_d21rocsparse_index_base_imNS_24const_host_device_scalarIfEENS9_IdEENS9_IS5_EEb, .Lfunc_end42-_ZN9rocsparseL12csrilu0_hashILj256ELj32ELj4E21rocsparse_complex_numIdEEEviPKiS4_PT2_S4_PiS4_S7_S7_d21rocsparse_index_base_imNS_24const_host_device_scalarIfEENS9_IdEENS9_IS5_EEb
                                        ; -- End function
	.set _ZN9rocsparseL12csrilu0_hashILj256ELj32ELj4E21rocsparse_complex_numIdEEEviPKiS4_PT2_S4_PiS4_S7_S7_d21rocsparse_index_base_imNS_24const_host_device_scalarIfEENS9_IdEENS9_IS5_EEb.num_vgpr, 40
	.set _ZN9rocsparseL12csrilu0_hashILj256ELj32ELj4E21rocsparse_complex_numIdEEEviPKiS4_PT2_S4_PiS4_S7_S7_d21rocsparse_index_base_imNS_24const_host_device_scalarIfEENS9_IdEENS9_IS5_EEb.num_agpr, 0
	.set _ZN9rocsparseL12csrilu0_hashILj256ELj32ELj4E21rocsparse_complex_numIdEEEviPKiS4_PT2_S4_PiS4_S7_S7_d21rocsparse_index_base_imNS_24const_host_device_scalarIfEENS9_IdEENS9_IS5_EEb.numbered_sgpr, 43
	.set _ZN9rocsparseL12csrilu0_hashILj256ELj32ELj4E21rocsparse_complex_numIdEEEviPKiS4_PT2_S4_PiS4_S7_S7_d21rocsparse_index_base_imNS_24const_host_device_scalarIfEENS9_IdEENS9_IS5_EEb.num_named_barrier, 0
	.set _ZN9rocsparseL12csrilu0_hashILj256ELj32ELj4E21rocsparse_complex_numIdEEEviPKiS4_PT2_S4_PiS4_S7_S7_d21rocsparse_index_base_imNS_24const_host_device_scalarIfEENS9_IdEENS9_IS5_EEb.private_seg_size, 16
	.set _ZN9rocsparseL12csrilu0_hashILj256ELj32ELj4E21rocsparse_complex_numIdEEEviPKiS4_PT2_S4_PiS4_S7_S7_d21rocsparse_index_base_imNS_24const_host_device_scalarIfEENS9_IdEENS9_IS5_EEb.uses_vcc, 1
	.set _ZN9rocsparseL12csrilu0_hashILj256ELj32ELj4E21rocsparse_complex_numIdEEEviPKiS4_PT2_S4_PiS4_S7_S7_d21rocsparse_index_base_imNS_24const_host_device_scalarIfEENS9_IdEENS9_IS5_EEb.uses_flat_scratch, 1
	.set _ZN9rocsparseL12csrilu0_hashILj256ELj32ELj4E21rocsparse_complex_numIdEEEviPKiS4_PT2_S4_PiS4_S7_S7_d21rocsparse_index_base_imNS_24const_host_device_scalarIfEENS9_IdEENS9_IS5_EEb.has_dyn_sized_stack, 0
	.set _ZN9rocsparseL12csrilu0_hashILj256ELj32ELj4E21rocsparse_complex_numIdEEEviPKiS4_PT2_S4_PiS4_S7_S7_d21rocsparse_index_base_imNS_24const_host_device_scalarIfEENS9_IdEENS9_IS5_EEb.has_recursion, 0
	.set _ZN9rocsparseL12csrilu0_hashILj256ELj32ELj4E21rocsparse_complex_numIdEEEviPKiS4_PT2_S4_PiS4_S7_S7_d21rocsparse_index_base_imNS_24const_host_device_scalarIfEENS9_IdEENS9_IS5_EEb.has_indirect_call, 0
	.section	.AMDGPU.csdata,"",@progbits
; Kernel info:
; codeLenInByte = 3520
; TotalNumSgprs: 45
; NumVgprs: 40
; ScratchSize: 16
; MemoryBound: 0
; FloatMode: 240
; IeeeMode: 1
; LDSByteSize: 8192 bytes/workgroup (compile time only)
; SGPRBlocks: 0
; VGPRBlocks: 4
; NumSGPRsForWavesPerEU: 45
; NumVGPRsForWavesPerEU: 40
; Occupancy: 16
; WaveLimiterHint : 1
; COMPUTE_PGM_RSRC2:SCRATCH_EN: 1
; COMPUTE_PGM_RSRC2:USER_SGPR: 8
; COMPUTE_PGM_RSRC2:TRAP_HANDLER: 0
; COMPUTE_PGM_RSRC2:TGID_X_EN: 1
; COMPUTE_PGM_RSRC2:TGID_Y_EN: 0
; COMPUTE_PGM_RSRC2:TGID_Z_EN: 0
; COMPUTE_PGM_RSRC2:TIDIG_COMP_CNT: 0
	.section	.text._ZN9rocsparseL12csrilu0_hashILj256ELj32ELj8E21rocsparse_complex_numIdEEEviPKiS4_PT2_S4_PiS4_S7_S7_d21rocsparse_index_base_imNS_24const_host_device_scalarIfEENS9_IdEENS9_IS5_EEb,"axG",@progbits,_ZN9rocsparseL12csrilu0_hashILj256ELj32ELj8E21rocsparse_complex_numIdEEEviPKiS4_PT2_S4_PiS4_S7_S7_d21rocsparse_index_base_imNS_24const_host_device_scalarIfEENS9_IdEENS9_IS5_EEb,comdat
	.globl	_ZN9rocsparseL12csrilu0_hashILj256ELj32ELj8E21rocsparse_complex_numIdEEEviPKiS4_PT2_S4_PiS4_S7_S7_d21rocsparse_index_base_imNS_24const_host_device_scalarIfEENS9_IdEENS9_IS5_EEb ; -- Begin function _ZN9rocsparseL12csrilu0_hashILj256ELj32ELj8E21rocsparse_complex_numIdEEEviPKiS4_PT2_S4_PiS4_S7_S7_d21rocsparse_index_base_imNS_24const_host_device_scalarIfEENS9_IdEENS9_IS5_EEb
	.p2align	8
	.type	_ZN9rocsparseL12csrilu0_hashILj256ELj32ELj8E21rocsparse_complex_numIdEEEviPKiS4_PT2_S4_PiS4_S7_S7_d21rocsparse_index_base_imNS_24const_host_device_scalarIfEENS9_IdEENS9_IS5_EEb,@function
_ZN9rocsparseL12csrilu0_hashILj256ELj32ELj8E21rocsparse_complex_numIdEEEviPKiS4_PT2_S4_PiS4_S7_S7_d21rocsparse_index_base_imNS_24const_host_device_scalarIfEENS9_IdEENS9_IS5_EEb: ; @_ZN9rocsparseL12csrilu0_hashILj256ELj32ELj8E21rocsparse_complex_numIdEEEviPKiS4_PT2_S4_PiS4_S7_S7_d21rocsparse_index_base_imNS_24const_host_device_scalarIfEENS9_IdEENS9_IS5_EEb
; %bb.0:
	s_add_u32 s6, s6, s9
	s_addc_u32 s7, s7, 0
	s_setreg_b32 hwreg(HW_REG_FLAT_SCR_LO), s6
	s_setreg_b32 hwreg(HW_REG_FLAT_SCR_HI), s7
	s_add_u32 s0, s0, s9
	s_clause 0x3
	s_load_dword s9, s[4:5], 0x80
	s_load_dwordx2 s[34:35], s[4:5], 0x50
	s_load_dwordx8 s[24:31], s[4:5], 0x58
	s_load_dwordx2 s[6:7], s[4:5], 0x78
	s_addc_u32 s1, s1, 0
	s_waitcnt lgkmcnt(0)
	s_bitcmp1_b32 s9, 0
	s_cselect_b32 s9, -1, 0
	s_cmp_eq_u32 s35, 0
	v_mov_b32_e32 v1, s31
	s_cselect_b32 s14, -1, 0
	s_cmp_lg_u32 s35, 0
	v_mov_b32_e32 v2, s30
	s_cselect_b32 s12, -1, 0
	s_or_b32 s15, s14, s9
	buffer_store_dword v1, off, s[0:3], 0 offset:4
	s_xor_b32 s13, s15, -1
	s_and_b32 s10, s14, exec_lo
	s_cselect_b32 s11, 0, s29
	s_cselect_b32 s10, 0, s28
	s_and_b32 vcc_lo, exec_lo, s15
	buffer_store_dword v2, off, s[0:3], 0
	s_cbranch_vccnz .LBB43_2
; %bb.1:
	s_load_dword s10, s[26:27], 0x0
	s_waitcnt lgkmcnt(0)
	v_mov_b32_e32 v25, s10
	s_mov_b64 s[10:11], s[28:29]
	v_mov_b32_e32 v16, s11
	v_mov_b32_e32 v15, s10
	s_andn2_b32 vcc_lo, exec_lo, s13
	s_cbranch_vccz .LBB43_3
	s_branch .LBB43_4
.LBB43_2:
	v_cndmask_b32_e64 v25, s26, 0, s14
	v_mov_b32_e32 v16, s11
	v_mov_b32_e32 v15, s10
	s_andn2_b32 vcc_lo, exec_lo, s13
	s_cbranch_vccnz .LBB43_4
.LBB43_3:
	v_mov_b32_e32 v1, s28
	v_mov_b32_e32 v2, s29
	flat_load_dwordx2 v[15:16], v[1:2]
.LBB43_4:
	v_mov_b32_e32 v3, 0
	v_mov_b32_e32 v1, 0
	v_cndmask_b32_e64 v26, 0, 1, s12
	v_mov_b32_e32 v4, 0
	v_mov_b32_e32 v2, 0
	s_andn2_b32 vcc_lo, exec_lo, s12
	s_cbranch_vccnz .LBB43_7
; %bb.5:
	s_mov_b64 s[10:11], src_private_base
	s_xor_b32 s10, s9, -1
	s_and_b32 s9, s9, exec_lo
	s_cselect_b32 s9, 0, s30
	s_cselect_b32 s11, s11, s31
	v_mov_b32_e32 v1, s9
	v_mov_b32_e32 v2, s11
	v_mov_b32_e32 v3, s6
	v_mov_b32_e32 v4, s7
	s_andn2_b32 vcc_lo, exec_lo, s10
	flat_load_dwordx2 v[1:2], v[1:2]
	s_cbranch_vccnz .LBB43_7
; %bb.6:
	v_mov_b32_e32 v3, s30
	v_mov_b32_e32 v4, s31
	flat_load_dwordx2 v[3:4], v[3:4] offset:8
.LBB43_7:
	v_lshrrev_b32_e32 v5, 5, v0
	v_and_b32_e32 v24, 31, v0
	s_mov_b32 s6, 0
	v_lshlrev_b32_e32 v7, 10, v5
	v_lshlrev_b32_e32 v8, 2, v24
	v_or_b32_e32 v6, 0xffffffe0, v24
	v_or3_b32 v7, v7, v8, 0x2000
	v_mov_b32_e32 v8, -1
.LBB43_8:                               ; =>This Inner Loop Header: Depth=1
	v_add_nc_u32_e32 v6, 32, v6
	ds_write_b32 v7, v8
	v_add_nc_u32_e32 v7, 0x80, v7
	v_cmp_lt_u32_e32 vcc_lo, 0xdf, v6
	s_or_b32 s6, vcc_lo, s6
	s_andn2_b32 exec_lo, exec_lo, s6
	s_cbranch_execnz .LBB43_8
; %bb.9:
	s_or_b32 exec_lo, exec_lo, s6
	s_load_dword s6, s[4:5], 0x0
	s_lshl_b32 s7, s8, 3
	s_waitcnt vmcnt(0) lgkmcnt(0)
	s_waitcnt_vscnt null, 0x0
	buffer_gl0_inv
	v_and_or_b32 v5, 0x7fffff8, s7, v5
	v_cmp_gt_i32_e32 vcc_lo, s6, v5
	s_and_saveexec_b32 s6, vcc_lo
	s_cbranch_execz .LBB43_87
; %bb.10:
	s_load_dwordx16 s[8:23], s[4:5], 0x8
	v_lshlrev_b32_e32 v5, 2, v5
	v_lshlrev_b32_e32 v0, 5, v0
	s_mov_b32 s6, exec_lo
	v_and_b32_e32 v0, 0x1c00, v0
	v_or_b32_e32 v27, 0x2000, v0
	s_waitcnt lgkmcnt(0)
	global_load_dword v17, v5, s[18:19]
	s_waitcnt vmcnt(0)
	v_ashrrev_i32_e32 v18, 31, v17
	v_lshlrev_b64 v[13:14], 2, v[17:18]
	v_add_co_u32 v5, vcc_lo, s8, v13
	v_add_co_ci_u32_e64 v6, null, s9, v14, vcc_lo
	v_add_co_u32 v7, vcc_lo, s14, v13
	v_add_co_ci_u32_e64 v8, null, s15, v14, vcc_lo
	global_load_dwordx2 v[5:6], v[5:6], off
	global_load_dword v18, v[7:8], off
	s_waitcnt vmcnt(1)
	v_subrev_nc_u32_e32 v19, s34, v5
	v_subrev_nc_u32_e32 v7, s34, v6
	v_add_nc_u32_e32 v5, v19, v24
	v_cmpx_lt_i32_e64 v5, v7
	s_cbranch_execz .LBB43_33
; %bb.11:
	v_mov_b32_e32 v8, -1
	s_mov_b32 s7, 0
	s_branch .LBB43_13
.LBB43_12:                              ;   in Loop: Header=BB43_13 Depth=1
	s_or_b32 exec_lo, exec_lo, s18
	v_add_nc_u32_e32 v5, 32, v5
	v_cmp_ge_i32_e32 vcc_lo, v5, v7
	s_or_b32 s7, vcc_lo, s7
	s_andn2_b32 exec_lo, exec_lo, s7
	s_cbranch_execz .LBB43_33
.LBB43_13:                              ; =>This Loop Header: Depth=1
                                        ;     Child Loop BB43_22 Depth 2
	v_ashrrev_i32_e32 v6, 31, v5
	s_mov_b32 s18, 0
                                        ; implicit-def: $sgpr19
                                        ; implicit-def: $sgpr26
                                        ; implicit-def: $sgpr27
	v_lshlrev_b64 v[9:10], 2, v[5:6]
	v_add_co_u32 v9, vcc_lo, s10, v9
	v_add_co_ci_u32_e64 v10, null, s11, v10, vcc_lo
	global_load_dword v6, v[9:10], off
	v_mov_b32_e32 v9, 0x100
	s_waitcnt vmcnt(0)
	v_mul_lo_u32 v11, 0x67, v6
	s_branch .LBB43_22
.LBB43_14:                              ;   in Loop: Header=BB43_22 Depth=2
	s_or_b32 exec_lo, exec_lo, s39
	s_orn2_b32 s37, s37, exec_lo
	s_orn2_b32 s38, s38, exec_lo
.LBB43_15:                              ;   in Loop: Header=BB43_22 Depth=2
	s_or_b32 exec_lo, exec_lo, s36
	s_and_b32 s37, s37, exec_lo
	s_orn2_b32 s36, s38, exec_lo
.LBB43_16:                              ;   in Loop: Header=BB43_22 Depth=2
	s_or_b32 exec_lo, exec_lo, s35
	s_orn2_b32 s35, s37, exec_lo
	s_orn2_b32 s36, s36, exec_lo
.LBB43_17:                              ;   in Loop: Header=BB43_22 Depth=2
	s_or_b32 exec_lo, exec_lo, s33
	s_and_b32 s35, s35, exec_lo
	s_orn2_b32 s33, s36, exec_lo
.LBB43_18:                              ;   in Loop: Header=BB43_22 Depth=2
	s_or_b32 exec_lo, exec_lo, s31
	s_orn2_b32 s31, s35, exec_lo
	s_orn2_b32 s33, s33, exec_lo
.LBB43_19:                              ;   in Loop: Header=BB43_22 Depth=2
	s_or_b32 exec_lo, exec_lo, s30
	s_and_b32 s31, s31, exec_lo
	s_orn2_b32 s30, s33, exec_lo
.LBB43_20:                              ;   in Loop: Header=BB43_22 Depth=2
	s_or_b32 exec_lo, exec_lo, s29
	s_andn2_b32 s27, s27, exec_lo
	s_and_b32 s29, s31, exec_lo
	s_andn2_b32 s26, s26, exec_lo
	s_and_b32 s30, s30, exec_lo
	s_or_b32 s27, s27, s29
	s_or_b32 s26, s26, s30
.LBB43_21:                              ;   in Loop: Header=BB43_22 Depth=2
	s_or_b32 exec_lo, exec_lo, s28
	s_and_b32 s28, exec_lo, s26
	s_or_b32 s18, s28, s18
	s_andn2_b32 s19, s19, exec_lo
	s_and_b32 s28, s27, exec_lo
	s_or_b32 s19, s19, s28
	s_andn2_b32 exec_lo, exec_lo, s18
	s_cbranch_execz .LBB43_31
.LBB43_22:                              ;   Parent Loop BB43_13 Depth=1
                                        ; =>  This Inner Loop Header: Depth=2
	v_and_b32_e32 v10, 0xff, v11
	s_or_b32 s27, s27, exec_lo
	s_or_b32 s26, s26, exec_lo
	s_mov_b32 s28, exec_lo
	v_lshl_add_u32 v12, v10, 2, v27
	ds_read_b32 v20, v12
	s_waitcnt lgkmcnt(0)
	v_cmpx_ne_u32_e64 v20, v6
	s_cbranch_execz .LBB43_21
; %bb.23:                               ;   in Loop: Header=BB43_22 Depth=2
	ds_cmpst_rtn_b32 v12, v12, v8, v6
	s_mov_b32 s30, -1
	s_mov_b32 s31, 0
	s_mov_b32 s29, exec_lo
	s_waitcnt lgkmcnt(0)
	v_cmpx_ne_u32_e32 -1, v12
	s_cbranch_execz .LBB43_20
; %bb.24:                               ;   in Loop: Header=BB43_22 Depth=2
	v_add_nc_u32_e32 v10, 1, v11
	s_mov_b32 s33, -1
	s_mov_b32 s31, -1
	s_mov_b32 s30, exec_lo
	v_and_b32_e32 v10, 0xff, v10
	v_lshl_add_u32 v12, v10, 2, v27
	ds_read_b32 v20, v12
	s_waitcnt lgkmcnt(0)
	v_cmpx_ne_u32_e64 v20, v6
	s_cbranch_execz .LBB43_19
; %bb.25:                               ;   in Loop: Header=BB43_22 Depth=2
	ds_cmpst_rtn_b32 v12, v12, v8, v6
	s_mov_b32 s35, 0
	s_mov_b32 s31, exec_lo
	s_waitcnt lgkmcnt(0)
	v_cmpx_ne_u32_e32 -1, v12
	s_cbranch_execz .LBB43_18
; %bb.26:                               ;   in Loop: Header=BB43_22 Depth=2
	v_add_nc_u32_e32 v10, 2, v11
	s_mov_b32 s36, -1
	s_mov_b32 s35, -1
	s_mov_b32 s33, exec_lo
	v_and_b32_e32 v10, 0xff, v10
	v_lshl_add_u32 v12, v10, 2, v27
	ds_read_b32 v20, v12
	s_waitcnt lgkmcnt(0)
	v_cmpx_ne_u32_e64 v20, v6
	s_cbranch_execz .LBB43_17
; %bb.27:                               ;   in Loop: Header=BB43_22 Depth=2
	ds_cmpst_rtn_b32 v12, v12, v8, v6
	s_mov_b32 s37, 0
	s_mov_b32 s35, exec_lo
	s_waitcnt lgkmcnt(0)
	v_cmpx_ne_u32_e32 -1, v12
	s_cbranch_execz .LBB43_16
; %bb.28:                               ;   in Loop: Header=BB43_22 Depth=2
	v_add_nc_u32_e32 v10, 3, v11
	s_mov_b32 s38, -1
	s_mov_b32 s37, -1
	v_and_b32_e32 v10, 0xff, v10
	v_lshl_add_u32 v12, v10, 2, v27
	ds_read_b32 v11, v12
	s_waitcnt lgkmcnt(0)
	v_cmp_ne_u32_e32 vcc_lo, v11, v6
                                        ; implicit-def: $vgpr11
	s_and_saveexec_b32 s36, vcc_lo
	s_cbranch_execz .LBB43_15
; %bb.29:                               ;   in Loop: Header=BB43_22 Depth=2
	ds_cmpst_rtn_b32 v11, v12, v8, v6
	s_mov_b32 s37, 0
	s_waitcnt lgkmcnt(0)
	v_cmp_ne_u32_e32 vcc_lo, -1, v11
                                        ; implicit-def: $vgpr11
	s_and_saveexec_b32 s39, vcc_lo
	s_cbranch_execz .LBB43_14
; %bb.30:                               ;   in Loop: Header=BB43_22 Depth=2
	v_add_nc_u32_e32 v9, -4, v9
	v_add_nc_u32_e32 v11, 1, v10
	s_mov_b32 s37, exec_lo
	v_cmp_eq_u32_e32 vcc_lo, 0, v9
	s_orn2_b32 s38, vcc_lo, exec_lo
	s_branch .LBB43_14
.LBB43_31:                              ;   in Loop: Header=BB43_13 Depth=1
	s_or_b32 exec_lo, exec_lo, s18
	s_xor_b32 s18, s19, -1
	s_and_saveexec_b32 s19, s18
	s_xor_b32 s18, exec_lo, s19
	s_cbranch_execz .LBB43_12
; %bb.32:                               ;   in Loop: Header=BB43_13 Depth=1
	v_lshl_add_u32 v6, v10, 2, v0
	ds_write_b32 v6, v5
	s_branch .LBB43_12
.LBB43_33:
	s_or_b32 exec_lo, exec_lo, s6
	s_mov_b32 s7, exec_lo
	s_waitcnt vmcnt(0) lgkmcnt(0)
	buffer_gl0_inv
	v_cmpx_lt_i32_e64 v19, v18
	s_cbranch_execz .LBB43_63
; %bb.34:
	v_add_nc_u32_e32 v28, 1, v24
	s_mov_b32 s18, 0
	s_branch .LBB43_37
.LBB43_35:                              ;   in Loop: Header=BB43_37 Depth=1
	s_or_b32 exec_lo, exec_lo, s19
	v_add_nc_u32_e32 v19, 1, v19
	v_cmp_ge_i32_e32 vcc_lo, v19, v18
	s_orn2_b32 s19, vcc_lo, exec_lo
.LBB43_36:                              ;   in Loop: Header=BB43_37 Depth=1
	s_or_b32 exec_lo, exec_lo, s6
	s_and_b32 s6, exec_lo, s19
	s_or_b32 s18, s6, s18
	s_andn2_b32 exec_lo, exec_lo, s18
	s_cbranch_execz .LBB43_63
.LBB43_37:                              ; =>This Loop Header: Depth=1
                                        ;     Child Loop BB43_38 Depth 2
                                        ;     Child Loop BB43_43 Depth 2
                                        ;       Child Loop BB43_52 Depth 3
	v_ashrrev_i32_e32 v20, 31, v19
	s_mov_b32 s6, 0
	v_lshlrev_b64 v[5:6], 2, v[19:20]
	v_lshlrev_b64 v[7:8], 4, v[19:20]
	v_add_co_u32 v5, vcc_lo, s10, v5
	v_add_co_ci_u32_e64 v6, null, s11, v6, vcc_lo
	v_add_co_u32 v20, vcc_lo, s12, v7
	v_add_co_ci_u32_e64 v21, null, s13, v8, vcc_lo
	global_load_dword v5, v[5:6], off
	s_waitcnt vmcnt(0)
	v_subrev_nc_u32_e32 v5, s34, v5
	v_ashrrev_i32_e32 v6, 31, v5
	v_lshlrev_b64 v[9:10], 2, v[5:6]
	v_add_co_u32 v11, vcc_lo, s8, v9
	v_add_co_ci_u32_e64 v12, null, s9, v10, vcc_lo
	v_add_co_u32 v22, vcc_lo, s14, v9
	v_add_co_ci_u32_e64 v23, null, s15, v10, vcc_lo
	global_load_dwordx4 v[5:8], v[20:21], off
	global_load_dword v11, v[11:12], off offset:4
	global_load_dword v12, v[22:23], off
	v_add_co_u32 v9, vcc_lo, s16, v9
	v_add_co_ci_u32_e64 v10, null, s17, v10, vcc_lo
.LBB43_38:                              ;   Parent Loop BB43_37 Depth=1
                                        ; =>  This Inner Loop Header: Depth=2
	global_load_dword v22, v[9:10], off glc dlc
	s_waitcnt vmcnt(0)
	v_cmp_ne_u32_e32 vcc_lo, 0, v22
	s_or_b32 s6, vcc_lo, s6
	s_andn2_b32 exec_lo, exec_lo, s6
	s_cbranch_execnz .LBB43_38
; %bb.39:                               ;   in Loop: Header=BB43_37 Depth=1
	s_or_b32 exec_lo, exec_lo, s6
	v_subrev_nc_u32_e32 v29, s34, v11
	v_cmp_eq_u32_e32 vcc_lo, -1, v12
	buffer_gl1_inv
	buffer_gl0_inv
	s_mov_b32 s19, -1
	v_add_nc_u32_e32 v9, -1, v29
	v_cndmask_b32_e32 v22, v12, v9, vcc_lo
	v_ashrrev_i32_e32 v23, 31, v22
	v_lshlrev_b64 v[9:10], 4, v[22:23]
	v_add_co_u32 v9, vcc_lo, s12, v9
	v_add_co_ci_u32_e64 v10, null, s13, v10, vcc_lo
	global_load_dwordx4 v[9:12], v[9:10], off
	s_waitcnt vmcnt(0)
	v_cmp_neq_f64_e32 vcc_lo, 0, v[9:10]
	v_cmp_neq_f64_e64 s6, 0, v[11:12]
	s_or_b32 s26, vcc_lo, s6
	s_and_saveexec_b32 s6, s26
	s_cbranch_execz .LBB43_36
; %bb.40:                               ;   in Loop: Header=BB43_37 Depth=1
	v_mul_f64 v[30:31], v[11:12], v[11:12]
	s_mov_b32 s19, exec_lo
	v_fma_f64 v[30:31], v[9:10], v[9:10], v[30:31]
	v_div_scale_f64 v[32:33], null, v[30:31], v[30:31], 1.0
	v_div_scale_f64 v[38:39], vcc_lo, 1.0, v[30:31], 1.0
	v_rcp_f64_e32 v[34:35], v[32:33]
	v_fma_f64 v[36:37], -v[32:33], v[34:35], 1.0
	v_fma_f64 v[34:35], v[34:35], v[36:37], v[34:35]
	v_fma_f64 v[36:37], -v[32:33], v[34:35], 1.0
	v_fma_f64 v[34:35], v[34:35], v[36:37], v[34:35]
	v_mul_f64 v[36:37], v[38:39], v[34:35]
	v_fma_f64 v[32:33], -v[32:33], v[36:37], v[38:39]
	v_mul_f64 v[38:39], v[7:8], v[11:12]
	v_mul_f64 v[11:12], v[11:12], -v[5:6]
	v_div_fmas_f64 v[32:33], v[32:33], v[34:35], v[36:37]
	v_fma_f64 v[5:6], v[5:6], v[9:10], v[38:39]
	v_fma_f64 v[7:8], v[7:8], v[9:10], v[11:12]
	v_add_nc_u32_e32 v9, v28, v22
	v_div_fixup_f64 v[30:31], v[32:33], v[30:31], 1.0
	v_mul_f64 v[5:6], v[5:6], v[30:31]
	v_mul_f64 v[7:8], v[7:8], v[30:31]
	global_store_dwordx4 v[20:21], v[5:8], off
	v_cmpx_lt_i32_e64 v9, v29
	s_cbranch_execz .LBB43_35
; %bb.41:                               ;   in Loop: Header=BB43_37 Depth=1
	s_mov_b32 s26, 0
	s_branch .LBB43_43
.LBB43_42:                              ;   in Loop: Header=BB43_43 Depth=2
	s_or_b32 exec_lo, exec_lo, s27
	v_add_nc_u32_e32 v9, 32, v9
	v_cmp_ge_i32_e32 vcc_lo, v9, v29
	s_or_b32 s26, vcc_lo, s26
	s_andn2_b32 exec_lo, exec_lo, s26
	s_cbranch_execz .LBB43_35
.LBB43_43:                              ;   Parent Loop BB43_37 Depth=1
                                        ; =>  This Loop Header: Depth=2
                                        ;       Child Loop BB43_52 Depth 3
	v_ashrrev_i32_e32 v10, 31, v9
	s_mov_b32 s27, 0
                                        ; implicit-def: $sgpr28
                                        ; implicit-def: $sgpr29
                                        ; implicit-def: $sgpr30
	v_lshlrev_b64 v[11:12], 2, v[9:10]
	v_add_co_u32 v11, vcc_lo, s10, v11
	v_add_co_ci_u32_e64 v12, null, s11, v12, vcc_lo
	global_load_dword v11, v[11:12], off
	v_mov_b32_e32 v12, 0x100
	s_waitcnt vmcnt(0)
	v_mul_lo_u32 v21, 0x67, v11
	s_branch .LBB43_52
.LBB43_44:                              ;   in Loop: Header=BB43_52 Depth=3
	s_or_b32 exec_lo, exec_lo, s42
	s_orn2_b32 s40, s40, exec_lo
	s_orn2_b32 s41, s41, exec_lo
.LBB43_45:                              ;   in Loop: Header=BB43_52 Depth=3
	s_or_b32 exec_lo, exec_lo, s39
	s_and_b32 s40, s40, exec_lo
	s_orn2_b32 s39, s41, exec_lo
.LBB43_46:                              ;   in Loop: Header=BB43_52 Depth=3
	s_or_b32 exec_lo, exec_lo, s38
	s_orn2_b32 s38, s40, exec_lo
	s_orn2_b32 s39, s39, exec_lo
.LBB43_47:                              ;   in Loop: Header=BB43_52 Depth=3
	s_or_b32 exec_lo, exec_lo, s37
	s_and_b32 s38, s38, exec_lo
	s_orn2_b32 s37, s39, exec_lo
.LBB43_48:                              ;   in Loop: Header=BB43_52 Depth=3
	s_or_b32 exec_lo, exec_lo, s36
	s_orn2_b32 s36, s38, exec_lo
	s_orn2_b32 s37, s37, exec_lo
.LBB43_49:                              ;   in Loop: Header=BB43_52 Depth=3
	s_or_b32 exec_lo, exec_lo, s35
	s_and_b32 s36, s36, exec_lo
	s_orn2_b32 s35, s37, exec_lo
.LBB43_50:                              ;   in Loop: Header=BB43_52 Depth=3
	s_or_b32 exec_lo, exec_lo, s33
	s_andn2_b32 s30, s30, exec_lo
	s_and_b32 s33, s36, exec_lo
	s_andn2_b32 s29, s29, exec_lo
	s_and_b32 s35, s35, exec_lo
	s_or_b32 s30, s30, s33
	s_or_b32 s29, s29, s35
.LBB43_51:                              ;   in Loop: Header=BB43_52 Depth=3
	s_or_b32 exec_lo, exec_lo, s31
	s_and_b32 s31, exec_lo, s29
	s_or_b32 s27, s31, s27
	s_andn2_b32 s28, s28, exec_lo
	s_and_b32 s31, s30, exec_lo
	s_or_b32 s28, s28, s31
	s_andn2_b32 exec_lo, exec_lo, s27
	s_cbranch_execz .LBB43_61
.LBB43_52:                              ;   Parent Loop BB43_37 Depth=1
                                        ;     Parent Loop BB43_43 Depth=2
                                        ; =>    This Inner Loop Header: Depth=3
	v_and_b32_e32 v20, 0xff, v21
	s_or_b32 s30, s30, exec_lo
	s_or_b32 s29, s29, exec_lo
	s_mov_b32 s31, exec_lo
	v_lshl_add_u32 v22, v20, 2, v27
	ds_read_b32 v22, v22
	s_waitcnt lgkmcnt(0)
	v_cmpx_ne_u32_e32 -1, v22
	s_cbranch_execz .LBB43_51
; %bb.53:                               ;   in Loop: Header=BB43_52 Depth=3
	s_mov_b32 s35, -1
	s_mov_b32 s36, 0
	s_mov_b32 s33, exec_lo
	v_cmpx_ne_u32_e64 v22, v11
	s_cbranch_execz .LBB43_50
; %bb.54:                               ;   in Loop: Header=BB43_52 Depth=3
	v_add_nc_u32_e32 v20, 1, v21
	s_mov_b32 s37, -1
	s_mov_b32 s36, -1
	s_mov_b32 s35, exec_lo
	v_and_b32_e32 v20, 0xff, v20
	v_lshl_add_u32 v22, v20, 2, v27
	ds_read_b32 v22, v22
	s_waitcnt lgkmcnt(0)
	v_cmpx_ne_u32_e32 -1, v22
	s_cbranch_execz .LBB43_49
; %bb.55:                               ;   in Loop: Header=BB43_52 Depth=3
	s_mov_b32 s38, 0
	s_mov_b32 s36, exec_lo
	v_cmpx_ne_u32_e64 v22, v11
	s_cbranch_execz .LBB43_48
; %bb.56:                               ;   in Loop: Header=BB43_52 Depth=3
	v_add_nc_u32_e32 v20, 2, v21
	s_mov_b32 s39, -1
	s_mov_b32 s38, -1
	s_mov_b32 s37, exec_lo
	v_and_b32_e32 v20, 0xff, v20
	v_lshl_add_u32 v22, v20, 2, v27
	ds_read_b32 v22, v22
	s_waitcnt lgkmcnt(0)
	v_cmpx_ne_u32_e32 -1, v22
	s_cbranch_execz .LBB43_47
; %bb.57:                               ;   in Loop: Header=BB43_52 Depth=3
	s_mov_b32 s40, 0
	s_mov_b32 s38, exec_lo
	v_cmpx_ne_u32_e64 v22, v11
	s_cbranch_execz .LBB43_46
; %bb.58:                               ;   in Loop: Header=BB43_52 Depth=3
	v_add_nc_u32_e32 v20, 3, v21
	s_mov_b32 s41, -1
	s_mov_b32 s40, -1
	s_mov_b32 s39, exec_lo
	v_and_b32_e32 v20, 0xff, v20
	v_lshl_add_u32 v21, v20, 2, v27
	ds_read_b32 v22, v21
                                        ; implicit-def: $vgpr21
	s_waitcnt lgkmcnt(0)
	v_cmpx_ne_u32_e32 -1, v22
	s_cbranch_execz .LBB43_45
; %bb.59:                               ;   in Loop: Header=BB43_52 Depth=3
	s_mov_b32 s40, 0
	s_mov_b32 s42, exec_lo
                                        ; implicit-def: $vgpr21
	v_cmpx_ne_u32_e64 v22, v11
	s_cbranch_execz .LBB43_44
; %bb.60:                               ;   in Loop: Header=BB43_52 Depth=3
	v_add_nc_u32_e32 v12, -4, v12
	v_add_nc_u32_e32 v21, 1, v20
	s_mov_b32 s40, exec_lo
	v_cmp_eq_u32_e32 vcc_lo, 0, v12
	s_orn2_b32 s41, vcc_lo, exec_lo
	s_branch .LBB43_44
.LBB43_61:                              ;   in Loop: Header=BB43_43 Depth=2
	s_or_b32 exec_lo, exec_lo, s27
	s_xor_b32 s27, s28, -1
	s_and_saveexec_b32 s28, s27
	s_xor_b32 s27, exec_lo, s28
	s_cbranch_execz .LBB43_42
; %bb.62:                               ;   in Loop: Header=BB43_43 Depth=2
	v_lshl_add_u32 v11, v20, 2, v0
	v_lshlrev_b64 v[20:21], 4, v[9:10]
	ds_read_b32 v11, v11
	v_add_co_u32 v20, vcc_lo, s12, v20
	v_add_co_ci_u32_e64 v21, null, s13, v21, vcc_lo
	s_waitcnt lgkmcnt(0)
	v_ashrrev_i32_e32 v12, 31, v11
	v_lshlrev_b64 v[10:11], 4, v[11:12]
	v_add_co_u32 v10, vcc_lo, s12, v10
	v_add_co_ci_u32_e64 v11, null, s13, v11, vcc_lo
	s_clause 0x1
	global_load_dwordx4 v[20:23], v[20:21], off
	global_load_dwordx4 v[30:33], v[10:11], off
	s_waitcnt vmcnt(0)
	v_fma_f64 v[30:31], -v[5:6], v[20:21], v[30:31]
	v_fma_f64 v[32:33], -v[7:8], v[20:21], v[32:33]
	v_fma_f64 v[20:21], v[7:8], v[22:23], v[30:31]
	v_fma_f64 v[22:23], -v[5:6], v[22:23], v[32:33]
	global_store_dwordx4 v[10:11], v[20:23], off
	s_branch .LBB43_42
.LBB43_63:
	s_or_b32 exec_lo, exec_lo, s7
	s_mov_b32 s7, exec_lo
	s_waitcnt_vscnt null, 0x0
	buffer_gl0_inv
	v_cmpx_lt_i32_e32 -1, v18
	s_cbranch_execz .LBB43_85
; %bb.64:
	v_mov_b32_e32 v19, 0
	s_mov_b32 s6, exec_lo
	v_lshlrev_b64 v[5:6], 4, v[18:19]
	v_add_co_u32 v9, vcc_lo, s12, v5
	v_add_co_ci_u32_e64 v10, null, s13, v6, vcc_lo
	global_load_dwordx4 v[5:8], v[9:10], off
	s_waitcnt vmcnt(0)
	v_cmp_gt_f64_e32 vcc_lo, 0, v[5:6]
	v_xor_b32_e32 v0, 0x80000000, v6
	v_xor_b32_e32 v18, 0x80000000, v8
	v_mov_b32_e32 v11, v5
	v_mov_b32_e32 v20, v7
	v_cndmask_b32_e32 v12, v6, v0, vcc_lo
	v_cmp_gt_f64_e32 vcc_lo, 0, v[7:8]
	v_cndmask_b32_e32 v21, v8, v18, vcc_lo
                                        ; implicit-def: $vgpr18_vgpr19
	v_cmpx_ngt_f64_e32 v[11:12], v[20:21]
	s_xor_b32 s6, exec_lo, s6
	s_cbranch_execz .LBB43_68
; %bb.65:
	v_mov_b32_e32 v18, 0
	v_mov_b32_e32 v19, 0
	s_mov_b32 s8, exec_lo
	v_cmpx_neq_f64_e32 0, v[7:8]
	s_cbranch_execz .LBB43_67
; %bb.66:
	v_div_scale_f64 v[18:19], null, v[20:21], v[20:21], v[11:12]
	v_div_scale_f64 v[29:30], vcc_lo, v[11:12], v[20:21], v[11:12]
	v_rcp_f64_e32 v[22:23], v[18:19]
	v_fma_f64 v[27:28], -v[18:19], v[22:23], 1.0
	v_fma_f64 v[22:23], v[22:23], v[27:28], v[22:23]
	v_fma_f64 v[27:28], -v[18:19], v[22:23], 1.0
	v_fma_f64 v[22:23], v[22:23], v[27:28], v[22:23]
	v_mul_f64 v[27:28], v[29:30], v[22:23]
	v_fma_f64 v[18:19], -v[18:19], v[27:28], v[29:30]
	v_div_fmas_f64 v[18:19], v[18:19], v[22:23], v[27:28]
	v_div_fixup_f64 v[11:12], v[18:19], v[20:21], v[11:12]
	v_fma_f64 v[11:12], v[11:12], v[11:12], 1.0
	v_cmp_gt_f64_e32 vcc_lo, 0x10000000, v[11:12]
	v_cndmask_b32_e64 v0, 0, 0x100, vcc_lo
	v_ldexp_f64 v[11:12], v[11:12], v0
	v_cndmask_b32_e64 v0, 0, 0xffffff80, vcc_lo
	v_rsq_f64_e32 v[18:19], v[11:12]
	v_cmp_class_f64_e64 vcc_lo, v[11:12], 0x260
	v_mul_f64 v[22:23], v[11:12], v[18:19]
	v_mul_f64 v[18:19], v[18:19], 0.5
	v_fma_f64 v[27:28], -v[18:19], v[22:23], 0.5
	v_fma_f64 v[22:23], v[22:23], v[27:28], v[22:23]
	v_fma_f64 v[18:19], v[18:19], v[27:28], v[18:19]
	v_fma_f64 v[27:28], -v[22:23], v[22:23], v[11:12]
	v_fma_f64 v[22:23], v[27:28], v[18:19], v[22:23]
	v_fma_f64 v[27:28], -v[22:23], v[22:23], v[11:12]
	v_fma_f64 v[18:19], v[27:28], v[18:19], v[22:23]
	v_ldexp_f64 v[18:19], v[18:19], v0
	v_cndmask_b32_e32 v12, v19, v12, vcc_lo
	v_cndmask_b32_e32 v11, v18, v11, vcc_lo
	v_mul_f64 v[18:19], v[20:21], v[11:12]
.LBB43_67:
	s_or_b32 exec_lo, exec_lo, s8
                                        ; implicit-def: $vgpr11_vgpr12
                                        ; implicit-def: $vgpr20_vgpr21
.LBB43_68:
	s_andn2_saveexec_b32 s6, s6
	s_cbranch_execz .LBB43_70
; %bb.69:
	v_div_scale_f64 v[18:19], null, v[11:12], v[11:12], v[20:21]
	v_div_scale_f64 v[29:30], vcc_lo, v[20:21], v[11:12], v[20:21]
	v_rcp_f64_e32 v[22:23], v[18:19]
	v_fma_f64 v[27:28], -v[18:19], v[22:23], 1.0
	v_fma_f64 v[22:23], v[22:23], v[27:28], v[22:23]
	v_fma_f64 v[27:28], -v[18:19], v[22:23], 1.0
	v_fma_f64 v[22:23], v[22:23], v[27:28], v[22:23]
	v_mul_f64 v[27:28], v[29:30], v[22:23]
	v_fma_f64 v[18:19], -v[18:19], v[27:28], v[29:30]
	v_div_fmas_f64 v[18:19], v[18:19], v[22:23], v[27:28]
	v_div_fixup_f64 v[18:19], v[18:19], v[11:12], v[20:21]
	v_fma_f64 v[18:19], v[18:19], v[18:19], 1.0
	v_cmp_gt_f64_e32 vcc_lo, 0x10000000, v[18:19]
	v_cndmask_b32_e64 v0, 0, 0x100, vcc_lo
	v_ldexp_f64 v[18:19], v[18:19], v0
	v_cndmask_b32_e64 v0, 0, 0xffffff80, vcc_lo
	v_rsq_f64_e32 v[20:21], v[18:19]
	v_cmp_class_f64_e64 vcc_lo, v[18:19], 0x260
	v_mul_f64 v[22:23], v[18:19], v[20:21]
	v_mul_f64 v[20:21], v[20:21], 0.5
	v_fma_f64 v[27:28], -v[20:21], v[22:23], 0.5
	v_fma_f64 v[22:23], v[22:23], v[27:28], v[22:23]
	v_fma_f64 v[20:21], v[20:21], v[27:28], v[20:21]
	v_fma_f64 v[27:28], -v[22:23], v[22:23], v[18:19]
	v_fma_f64 v[22:23], v[27:28], v[20:21], v[22:23]
	v_fma_f64 v[27:28], -v[22:23], v[22:23], v[18:19]
	v_fma_f64 v[20:21], v[27:28], v[20:21], v[22:23]
	v_ldexp_f64 v[20:21], v[20:21], v0
	v_cndmask_b32_e32 v19, v21, v19, vcc_lo
	v_cndmask_b32_e32 v18, v20, v18, vcc_lo
	v_mul_f64 v[18:19], v[11:12], v[18:19]
.LBB43_70:
	s_or_b32 exec_lo, exec_lo, s6
	v_cmp_ne_u32_e32 vcc_lo, 1, v26
	v_cmp_eq_u32_e64 s6, 0, v24
	s_mov_b32 s8, -1
	s_cbranch_vccnz .LBB43_74
; %bb.71:
	v_cvt_f64_f32_e32 v[11:12], v25
	s_cmp_eq_u64 s[24:25], 8
	s_cselect_b32 vcc_lo, -1, 0
	v_cndmask_b32_e32 v12, v12, v16, vcc_lo
	v_cndmask_b32_e32 v11, v11, v15, vcc_lo
	v_cmp_le_f64_e32 vcc_lo, v[18:19], v[11:12]
	s_and_b32 s9, s6, vcc_lo
	s_and_saveexec_b32 s8, s9
	s_cbranch_execz .LBB43_73
; %bb.72:
	global_store_dwordx4 v[9:10], v[1:4], off
	s_waitcnt_vscnt null, 0x0
	buffer_gl1_inv
	buffer_gl0_inv
.LBB43_73:
	s_or_b32 exec_lo, exec_lo, s8
	s_mov_b32 s8, 0
.LBB43_74:
	s_andn2_b32 vcc_lo, exec_lo, s8
	s_cbranch_vccnz .LBB43_85
; %bb.75:
	s_load_dwordx2 s[4:5], s[4:5], 0x48
	v_add_nc_u32_e32 v0, s34, v17
	s_waitcnt lgkmcnt(0)
	v_cmp_ge_f64_e32 vcc_lo, s[4:5], v[18:19]
	s_and_b32 s5, s6, vcc_lo
	s_and_saveexec_b32 s4, s5
	s_cbranch_execz .LBB43_80
; %bb.76:
	s_mov_b32 s8, exec_lo
	s_brev_b32 s5, -2
.LBB43_77:                              ; =>This Inner Loop Header: Depth=1
	s_ff1_i32_b32 s9, s8
	v_readlane_b32 s10, v0, s9
	s_lshl_b32 s9, 1, s9
	s_andn2_b32 s8, s8, s9
	s_min_i32 s5, s5, s10
	s_cmp_lg_u32 s8, 0
	s_cbranch_scc1 .LBB43_77
; %bb.78:
	v_mbcnt_lo_u32_b32 v1, exec_lo, 0
	s_mov_b32 s8, exec_lo
	v_cmpx_eq_u32_e32 0, v1
	s_xor_b32 s8, exec_lo, s8
	s_cbranch_execz .LBB43_80
; %bb.79:
	v_mov_b32_e32 v1, 0
	v_mov_b32_e32 v2, s5
	global_atomic_smin v1, v2, s[22:23]
.LBB43_80:
	s_or_b32 exec_lo, exec_lo, s4
	v_cmp_eq_f64_e32 vcc_lo, 0, v[5:6]
	v_cmp_eq_f64_e64 s4, 0, v[7:8]
	s_and_b32 s4, vcc_lo, s4
	s_and_b32 s4, s6, s4
	s_and_b32 exec_lo, exec_lo, s4
	s_cbranch_execz .LBB43_85
; %bb.81:
	s_mov_b32 s5, exec_lo
	s_brev_b32 s4, -2
.LBB43_82:                              ; =>This Inner Loop Header: Depth=1
	s_ff1_i32_b32 s6, s5
	v_readlane_b32 s8, v0, s6
	s_lshl_b32 s6, 1, s6
	s_andn2_b32 s5, s5, s6
	s_min_i32 s4, s4, s8
	s_cmp_lg_u32 s5, 0
	s_cbranch_scc1 .LBB43_82
; %bb.83:
	v_mbcnt_lo_u32_b32 v0, exec_lo, 0
	s_mov_b32 s5, exec_lo
	v_cmpx_eq_u32_e32 0, v0
	s_xor_b32 s5, exec_lo, s5
	s_cbranch_execz .LBB43_85
; %bb.84:
	v_mov_b32_e32 v0, 0
	v_mov_b32_e32 v1, s4
	global_atomic_smin v0, v1, s[20:21]
.LBB43_85:
	s_or_b32 exec_lo, exec_lo, s7
	v_cmp_eq_u32_e32 vcc_lo, 0, v24
	s_waitcnt_vscnt null, 0x0
	buffer_gl1_inv
	buffer_gl0_inv
	s_and_b32 exec_lo, exec_lo, vcc_lo
	s_cbranch_execz .LBB43_87
; %bb.86:
	v_add_co_u32 v0, vcc_lo, s16, v13
	v_add_co_ci_u32_e64 v1, null, s17, v14, vcc_lo
	v_mov_b32_e32 v2, 1
	global_store_dword v[0:1], v2, off
.LBB43_87:
	s_endpgm
	.section	.rodata,"a",@progbits
	.p2align	6, 0x0
	.amdhsa_kernel _ZN9rocsparseL12csrilu0_hashILj256ELj32ELj8E21rocsparse_complex_numIdEEEviPKiS4_PT2_S4_PiS4_S7_S7_d21rocsparse_index_base_imNS_24const_host_device_scalarIfEENS9_IdEENS9_IS5_EEb
		.amdhsa_group_segment_fixed_size 16384
		.amdhsa_private_segment_fixed_size 16
		.amdhsa_kernarg_size 132
		.amdhsa_user_sgpr_count 8
		.amdhsa_user_sgpr_private_segment_buffer 1
		.amdhsa_user_sgpr_dispatch_ptr 0
		.amdhsa_user_sgpr_queue_ptr 0
		.amdhsa_user_sgpr_kernarg_segment_ptr 1
		.amdhsa_user_sgpr_dispatch_id 0
		.amdhsa_user_sgpr_flat_scratch_init 1
		.amdhsa_user_sgpr_private_segment_size 0
		.amdhsa_wavefront_size32 1
		.amdhsa_uses_dynamic_stack 0
		.amdhsa_system_sgpr_private_segment_wavefront_offset 1
		.amdhsa_system_sgpr_workgroup_id_x 1
		.amdhsa_system_sgpr_workgroup_id_y 0
		.amdhsa_system_sgpr_workgroup_id_z 0
		.amdhsa_system_sgpr_workgroup_info 0
		.amdhsa_system_vgpr_workitem_id 0
		.amdhsa_next_free_vgpr 40
		.amdhsa_next_free_sgpr 43
		.amdhsa_reserve_vcc 1
		.amdhsa_reserve_flat_scratch 1
		.amdhsa_float_round_mode_32 0
		.amdhsa_float_round_mode_16_64 0
		.amdhsa_float_denorm_mode_32 3
		.amdhsa_float_denorm_mode_16_64 3
		.amdhsa_dx10_clamp 1
		.amdhsa_ieee_mode 1
		.amdhsa_fp16_overflow 0
		.amdhsa_workgroup_processor_mode 1
		.amdhsa_memory_ordered 1
		.amdhsa_forward_progress 1
		.amdhsa_shared_vgpr_count 0
		.amdhsa_exception_fp_ieee_invalid_op 0
		.amdhsa_exception_fp_denorm_src 0
		.amdhsa_exception_fp_ieee_div_zero 0
		.amdhsa_exception_fp_ieee_overflow 0
		.amdhsa_exception_fp_ieee_underflow 0
		.amdhsa_exception_fp_ieee_inexact 0
		.amdhsa_exception_int_div_zero 0
	.end_amdhsa_kernel
	.section	.text._ZN9rocsparseL12csrilu0_hashILj256ELj32ELj8E21rocsparse_complex_numIdEEEviPKiS4_PT2_S4_PiS4_S7_S7_d21rocsparse_index_base_imNS_24const_host_device_scalarIfEENS9_IdEENS9_IS5_EEb,"axG",@progbits,_ZN9rocsparseL12csrilu0_hashILj256ELj32ELj8E21rocsparse_complex_numIdEEEviPKiS4_PT2_S4_PiS4_S7_S7_d21rocsparse_index_base_imNS_24const_host_device_scalarIfEENS9_IdEENS9_IS5_EEb,comdat
.Lfunc_end43:
	.size	_ZN9rocsparseL12csrilu0_hashILj256ELj32ELj8E21rocsparse_complex_numIdEEEviPKiS4_PT2_S4_PiS4_S7_S7_d21rocsparse_index_base_imNS_24const_host_device_scalarIfEENS9_IdEENS9_IS5_EEb, .Lfunc_end43-_ZN9rocsparseL12csrilu0_hashILj256ELj32ELj8E21rocsparse_complex_numIdEEEviPKiS4_PT2_S4_PiS4_S7_S7_d21rocsparse_index_base_imNS_24const_host_device_scalarIfEENS9_IdEENS9_IS5_EEb
                                        ; -- End function
	.set _ZN9rocsparseL12csrilu0_hashILj256ELj32ELj8E21rocsparse_complex_numIdEEEviPKiS4_PT2_S4_PiS4_S7_S7_d21rocsparse_index_base_imNS_24const_host_device_scalarIfEENS9_IdEENS9_IS5_EEb.num_vgpr, 40
	.set _ZN9rocsparseL12csrilu0_hashILj256ELj32ELj8E21rocsparse_complex_numIdEEEviPKiS4_PT2_S4_PiS4_S7_S7_d21rocsparse_index_base_imNS_24const_host_device_scalarIfEENS9_IdEENS9_IS5_EEb.num_agpr, 0
	.set _ZN9rocsparseL12csrilu0_hashILj256ELj32ELj8E21rocsparse_complex_numIdEEEviPKiS4_PT2_S4_PiS4_S7_S7_d21rocsparse_index_base_imNS_24const_host_device_scalarIfEENS9_IdEENS9_IS5_EEb.numbered_sgpr, 43
	.set _ZN9rocsparseL12csrilu0_hashILj256ELj32ELj8E21rocsparse_complex_numIdEEEviPKiS4_PT2_S4_PiS4_S7_S7_d21rocsparse_index_base_imNS_24const_host_device_scalarIfEENS9_IdEENS9_IS5_EEb.num_named_barrier, 0
	.set _ZN9rocsparseL12csrilu0_hashILj256ELj32ELj8E21rocsparse_complex_numIdEEEviPKiS4_PT2_S4_PiS4_S7_S7_d21rocsparse_index_base_imNS_24const_host_device_scalarIfEENS9_IdEENS9_IS5_EEb.private_seg_size, 16
	.set _ZN9rocsparseL12csrilu0_hashILj256ELj32ELj8E21rocsparse_complex_numIdEEEviPKiS4_PT2_S4_PiS4_S7_S7_d21rocsparse_index_base_imNS_24const_host_device_scalarIfEENS9_IdEENS9_IS5_EEb.uses_vcc, 1
	.set _ZN9rocsparseL12csrilu0_hashILj256ELj32ELj8E21rocsparse_complex_numIdEEEviPKiS4_PT2_S4_PiS4_S7_S7_d21rocsparse_index_base_imNS_24const_host_device_scalarIfEENS9_IdEENS9_IS5_EEb.uses_flat_scratch, 1
	.set _ZN9rocsparseL12csrilu0_hashILj256ELj32ELj8E21rocsparse_complex_numIdEEEviPKiS4_PT2_S4_PiS4_S7_S7_d21rocsparse_index_base_imNS_24const_host_device_scalarIfEENS9_IdEENS9_IS5_EEb.has_dyn_sized_stack, 0
	.set _ZN9rocsparseL12csrilu0_hashILj256ELj32ELj8E21rocsparse_complex_numIdEEEviPKiS4_PT2_S4_PiS4_S7_S7_d21rocsparse_index_base_imNS_24const_host_device_scalarIfEENS9_IdEENS9_IS5_EEb.has_recursion, 0
	.set _ZN9rocsparseL12csrilu0_hashILj256ELj32ELj8E21rocsparse_complex_numIdEEEviPKiS4_PT2_S4_PiS4_S7_S7_d21rocsparse_index_base_imNS_24const_host_device_scalarIfEENS9_IdEENS9_IS5_EEb.has_indirect_call, 0
	.section	.AMDGPU.csdata,"",@progbits
; Kernel info:
; codeLenInByte = 3520
; TotalNumSgprs: 45
; NumVgprs: 40
; ScratchSize: 16
; MemoryBound: 0
; FloatMode: 240
; IeeeMode: 1
; LDSByteSize: 16384 bytes/workgroup (compile time only)
; SGPRBlocks: 0
; VGPRBlocks: 4
; NumSGPRsForWavesPerEU: 45
; NumVGPRsForWavesPerEU: 40
; Occupancy: 16
; WaveLimiterHint : 1
; COMPUTE_PGM_RSRC2:SCRATCH_EN: 1
; COMPUTE_PGM_RSRC2:USER_SGPR: 8
; COMPUTE_PGM_RSRC2:TRAP_HANDLER: 0
; COMPUTE_PGM_RSRC2:TGID_X_EN: 1
; COMPUTE_PGM_RSRC2:TGID_Y_EN: 0
; COMPUTE_PGM_RSRC2:TGID_Z_EN: 0
; COMPUTE_PGM_RSRC2:TIDIG_COMP_CNT: 0
	.section	.text._ZN9rocsparseL12csrilu0_hashILj256ELj32ELj16E21rocsparse_complex_numIdEEEviPKiS4_PT2_S4_PiS4_S7_S7_d21rocsparse_index_base_imNS_24const_host_device_scalarIfEENS9_IdEENS9_IS5_EEb,"axG",@progbits,_ZN9rocsparseL12csrilu0_hashILj256ELj32ELj16E21rocsparse_complex_numIdEEEviPKiS4_PT2_S4_PiS4_S7_S7_d21rocsparse_index_base_imNS_24const_host_device_scalarIfEENS9_IdEENS9_IS5_EEb,comdat
	.globl	_ZN9rocsparseL12csrilu0_hashILj256ELj32ELj16E21rocsparse_complex_numIdEEEviPKiS4_PT2_S4_PiS4_S7_S7_d21rocsparse_index_base_imNS_24const_host_device_scalarIfEENS9_IdEENS9_IS5_EEb ; -- Begin function _ZN9rocsparseL12csrilu0_hashILj256ELj32ELj16E21rocsparse_complex_numIdEEEviPKiS4_PT2_S4_PiS4_S7_S7_d21rocsparse_index_base_imNS_24const_host_device_scalarIfEENS9_IdEENS9_IS5_EEb
	.p2align	8
	.type	_ZN9rocsparseL12csrilu0_hashILj256ELj32ELj16E21rocsparse_complex_numIdEEEviPKiS4_PT2_S4_PiS4_S7_S7_d21rocsparse_index_base_imNS_24const_host_device_scalarIfEENS9_IdEENS9_IS5_EEb,@function
_ZN9rocsparseL12csrilu0_hashILj256ELj32ELj16E21rocsparse_complex_numIdEEEviPKiS4_PT2_S4_PiS4_S7_S7_d21rocsparse_index_base_imNS_24const_host_device_scalarIfEENS9_IdEENS9_IS5_EEb: ; @_ZN9rocsparseL12csrilu0_hashILj256ELj32ELj16E21rocsparse_complex_numIdEEEviPKiS4_PT2_S4_PiS4_S7_S7_d21rocsparse_index_base_imNS_24const_host_device_scalarIfEENS9_IdEENS9_IS5_EEb
; %bb.0:
	s_add_u32 s6, s6, s9
	s_addc_u32 s7, s7, 0
	s_setreg_b32 hwreg(HW_REG_FLAT_SCR_LO), s6
	s_setreg_b32 hwreg(HW_REG_FLAT_SCR_HI), s7
	s_add_u32 s0, s0, s9
	s_clause 0x3
	s_load_dword s9, s[4:5], 0x80
	s_load_dwordx2 s[34:35], s[4:5], 0x50
	s_load_dwordx8 s[24:31], s[4:5], 0x58
	s_load_dwordx2 s[6:7], s[4:5], 0x78
	s_addc_u32 s1, s1, 0
	s_waitcnt lgkmcnt(0)
	s_bitcmp1_b32 s9, 0
	s_cselect_b32 s9, -1, 0
	s_cmp_eq_u32 s35, 0
	v_mov_b32_e32 v1, s31
	s_cselect_b32 s14, -1, 0
	s_cmp_lg_u32 s35, 0
	v_mov_b32_e32 v2, s30
	s_cselect_b32 s12, -1, 0
	s_or_b32 s15, s14, s9
	buffer_store_dword v1, off, s[0:3], 0 offset:4
	s_xor_b32 s13, s15, -1
	s_and_b32 s10, s14, exec_lo
	s_cselect_b32 s11, 0, s29
	s_cselect_b32 s10, 0, s28
	s_and_b32 vcc_lo, exec_lo, s15
	buffer_store_dword v2, off, s[0:3], 0
	s_cbranch_vccnz .LBB44_2
; %bb.1:
	s_load_dword s10, s[26:27], 0x0
	s_waitcnt lgkmcnt(0)
	v_mov_b32_e32 v25, s10
	s_mov_b64 s[10:11], s[28:29]
	v_mov_b32_e32 v16, s11
	v_mov_b32_e32 v15, s10
	s_andn2_b32 vcc_lo, exec_lo, s13
	s_cbranch_vccz .LBB44_3
	s_branch .LBB44_4
.LBB44_2:
	v_cndmask_b32_e64 v25, s26, 0, s14
	v_mov_b32_e32 v16, s11
	v_mov_b32_e32 v15, s10
	s_andn2_b32 vcc_lo, exec_lo, s13
	s_cbranch_vccnz .LBB44_4
.LBB44_3:
	v_mov_b32_e32 v1, s28
	v_mov_b32_e32 v2, s29
	flat_load_dwordx2 v[15:16], v[1:2]
.LBB44_4:
	v_mov_b32_e32 v3, 0
	v_mov_b32_e32 v1, 0
	v_cndmask_b32_e64 v26, 0, 1, s12
	v_mov_b32_e32 v4, 0
	v_mov_b32_e32 v2, 0
	s_andn2_b32 vcc_lo, exec_lo, s12
	s_cbranch_vccnz .LBB44_7
; %bb.5:
	s_mov_b64 s[10:11], src_private_base
	s_xor_b32 s10, s9, -1
	s_and_b32 s9, s9, exec_lo
	s_cselect_b32 s9, 0, s30
	s_cselect_b32 s11, s11, s31
	v_mov_b32_e32 v1, s9
	v_mov_b32_e32 v2, s11
	;; [unrolled: 1-line block ×4, first 2 shown]
	s_andn2_b32 vcc_lo, exec_lo, s10
	flat_load_dwordx2 v[1:2], v[1:2]
	s_cbranch_vccnz .LBB44_7
; %bb.6:
	v_mov_b32_e32 v3, s30
	v_mov_b32_e32 v4, s31
	flat_load_dwordx2 v[3:4], v[3:4] offset:8
.LBB44_7:
	v_lshrrev_b32_e32 v5, 5, v0
	v_and_b32_e32 v24, 31, v0
	s_mov_b32 s6, 0
	v_lshlrev_b32_e32 v7, 11, v5
	v_lshlrev_b32_e32 v8, 2, v24
	v_or_b32_e32 v6, 0xffffffe0, v24
	v_or3_b32 v7, v7, v8, 0x4000
	v_mov_b32_e32 v8, -1
.LBB44_8:                               ; =>This Inner Loop Header: Depth=1
	v_add_nc_u32_e32 v6, 32, v6
	ds_write_b32 v7, v8
	v_add_nc_u32_e32 v7, 0x80, v7
	v_cmp_lt_u32_e32 vcc_lo, 0x1df, v6
	s_or_b32 s6, vcc_lo, s6
	s_andn2_b32 exec_lo, exec_lo, s6
	s_cbranch_execnz .LBB44_8
; %bb.9:
	s_or_b32 exec_lo, exec_lo, s6
	s_load_dword s6, s[4:5], 0x0
	s_lshl_b32 s7, s8, 3
	s_waitcnt vmcnt(0) lgkmcnt(0)
	s_waitcnt_vscnt null, 0x0
	buffer_gl0_inv
	v_and_or_b32 v5, 0x7fffff8, s7, v5
	v_cmp_gt_i32_e32 vcc_lo, s6, v5
	s_and_saveexec_b32 s6, vcc_lo
	s_cbranch_execz .LBB44_87
; %bb.10:
	s_load_dwordx16 s[8:23], s[4:5], 0x8
	v_lshlrev_b32_e32 v5, 2, v5
	v_lshlrev_b32_e32 v0, 6, v0
	s_mov_b32 s6, exec_lo
	v_and_b32_e32 v0, 0x3800, v0
	v_or_b32_e32 v27, 0x4000, v0
	s_waitcnt lgkmcnt(0)
	global_load_dword v17, v5, s[18:19]
	s_waitcnt vmcnt(0)
	v_ashrrev_i32_e32 v18, 31, v17
	v_lshlrev_b64 v[13:14], 2, v[17:18]
	v_add_co_u32 v5, vcc_lo, s8, v13
	v_add_co_ci_u32_e64 v6, null, s9, v14, vcc_lo
	v_add_co_u32 v7, vcc_lo, s14, v13
	v_add_co_ci_u32_e64 v8, null, s15, v14, vcc_lo
	global_load_dwordx2 v[5:6], v[5:6], off
	global_load_dword v18, v[7:8], off
	s_waitcnt vmcnt(1)
	v_subrev_nc_u32_e32 v19, s34, v5
	v_subrev_nc_u32_e32 v7, s34, v6
	v_add_nc_u32_e32 v5, v19, v24
	v_cmpx_lt_i32_e64 v5, v7
	s_cbranch_execz .LBB44_33
; %bb.11:
	v_mov_b32_e32 v8, -1
	s_mov_b32 s7, 0
	s_branch .LBB44_13
.LBB44_12:                              ;   in Loop: Header=BB44_13 Depth=1
	s_or_b32 exec_lo, exec_lo, s18
	v_add_nc_u32_e32 v5, 32, v5
	v_cmp_ge_i32_e32 vcc_lo, v5, v7
	s_or_b32 s7, vcc_lo, s7
	s_andn2_b32 exec_lo, exec_lo, s7
	s_cbranch_execz .LBB44_33
.LBB44_13:                              ; =>This Loop Header: Depth=1
                                        ;     Child Loop BB44_22 Depth 2
	v_ashrrev_i32_e32 v6, 31, v5
	s_mov_b32 s18, 0
                                        ; implicit-def: $sgpr19
                                        ; implicit-def: $sgpr26
                                        ; implicit-def: $sgpr27
	v_lshlrev_b64 v[9:10], 2, v[5:6]
	v_add_co_u32 v9, vcc_lo, s10, v9
	v_add_co_ci_u32_e64 v10, null, s11, v10, vcc_lo
	global_load_dword v6, v[9:10], off
	v_mov_b32_e32 v9, 0x200
	s_waitcnt vmcnt(0)
	v_mul_lo_u32 v11, 0x67, v6
	s_branch .LBB44_22
.LBB44_14:                              ;   in Loop: Header=BB44_22 Depth=2
	s_or_b32 exec_lo, exec_lo, s39
	s_orn2_b32 s37, s37, exec_lo
	s_orn2_b32 s38, s38, exec_lo
.LBB44_15:                              ;   in Loop: Header=BB44_22 Depth=2
	s_or_b32 exec_lo, exec_lo, s36
	s_and_b32 s37, s37, exec_lo
	s_orn2_b32 s36, s38, exec_lo
.LBB44_16:                              ;   in Loop: Header=BB44_22 Depth=2
	s_or_b32 exec_lo, exec_lo, s35
	s_orn2_b32 s35, s37, exec_lo
	s_orn2_b32 s36, s36, exec_lo
.LBB44_17:                              ;   in Loop: Header=BB44_22 Depth=2
	s_or_b32 exec_lo, exec_lo, s33
	s_and_b32 s35, s35, exec_lo
	s_orn2_b32 s33, s36, exec_lo
.LBB44_18:                              ;   in Loop: Header=BB44_22 Depth=2
	s_or_b32 exec_lo, exec_lo, s31
	s_orn2_b32 s31, s35, exec_lo
	s_orn2_b32 s33, s33, exec_lo
.LBB44_19:                              ;   in Loop: Header=BB44_22 Depth=2
	s_or_b32 exec_lo, exec_lo, s30
	s_and_b32 s31, s31, exec_lo
	s_orn2_b32 s30, s33, exec_lo
.LBB44_20:                              ;   in Loop: Header=BB44_22 Depth=2
	s_or_b32 exec_lo, exec_lo, s29
	s_andn2_b32 s27, s27, exec_lo
	s_and_b32 s29, s31, exec_lo
	s_andn2_b32 s26, s26, exec_lo
	s_and_b32 s30, s30, exec_lo
	s_or_b32 s27, s27, s29
	s_or_b32 s26, s26, s30
.LBB44_21:                              ;   in Loop: Header=BB44_22 Depth=2
	s_or_b32 exec_lo, exec_lo, s28
	s_and_b32 s28, exec_lo, s26
	s_or_b32 s18, s28, s18
	s_andn2_b32 s19, s19, exec_lo
	s_and_b32 s28, s27, exec_lo
	s_or_b32 s19, s19, s28
	s_andn2_b32 exec_lo, exec_lo, s18
	s_cbranch_execz .LBB44_31
.LBB44_22:                              ;   Parent Loop BB44_13 Depth=1
                                        ; =>  This Inner Loop Header: Depth=2
	v_and_b32_e32 v10, 0x1ff, v11
	s_or_b32 s27, s27, exec_lo
	s_or_b32 s26, s26, exec_lo
	s_mov_b32 s28, exec_lo
	v_lshl_add_u32 v12, v10, 2, v27
	ds_read_b32 v20, v12
	s_waitcnt lgkmcnt(0)
	v_cmpx_ne_u32_e64 v20, v6
	s_cbranch_execz .LBB44_21
; %bb.23:                               ;   in Loop: Header=BB44_22 Depth=2
	ds_cmpst_rtn_b32 v12, v12, v8, v6
	s_mov_b32 s30, -1
	s_mov_b32 s31, 0
	s_mov_b32 s29, exec_lo
	s_waitcnt lgkmcnt(0)
	v_cmpx_ne_u32_e32 -1, v12
	s_cbranch_execz .LBB44_20
; %bb.24:                               ;   in Loop: Header=BB44_22 Depth=2
	v_add_nc_u32_e32 v10, 1, v11
	s_mov_b32 s33, -1
	s_mov_b32 s31, -1
	s_mov_b32 s30, exec_lo
	v_and_b32_e32 v10, 0x1ff, v10
	v_lshl_add_u32 v12, v10, 2, v27
	ds_read_b32 v20, v12
	s_waitcnt lgkmcnt(0)
	v_cmpx_ne_u32_e64 v20, v6
	s_cbranch_execz .LBB44_19
; %bb.25:                               ;   in Loop: Header=BB44_22 Depth=2
	ds_cmpst_rtn_b32 v12, v12, v8, v6
	s_mov_b32 s35, 0
	s_mov_b32 s31, exec_lo
	s_waitcnt lgkmcnt(0)
	v_cmpx_ne_u32_e32 -1, v12
	s_cbranch_execz .LBB44_18
; %bb.26:                               ;   in Loop: Header=BB44_22 Depth=2
	v_add_nc_u32_e32 v10, 2, v11
	s_mov_b32 s36, -1
	s_mov_b32 s35, -1
	s_mov_b32 s33, exec_lo
	v_and_b32_e32 v10, 0x1ff, v10
	v_lshl_add_u32 v12, v10, 2, v27
	ds_read_b32 v20, v12
	s_waitcnt lgkmcnt(0)
	v_cmpx_ne_u32_e64 v20, v6
	s_cbranch_execz .LBB44_17
; %bb.27:                               ;   in Loop: Header=BB44_22 Depth=2
	ds_cmpst_rtn_b32 v12, v12, v8, v6
	s_mov_b32 s37, 0
	s_mov_b32 s35, exec_lo
	s_waitcnt lgkmcnt(0)
	v_cmpx_ne_u32_e32 -1, v12
	s_cbranch_execz .LBB44_16
; %bb.28:                               ;   in Loop: Header=BB44_22 Depth=2
	v_add_nc_u32_e32 v10, 3, v11
	s_mov_b32 s38, -1
	s_mov_b32 s37, -1
	v_and_b32_e32 v10, 0x1ff, v10
	v_lshl_add_u32 v12, v10, 2, v27
	ds_read_b32 v11, v12
	s_waitcnt lgkmcnt(0)
	v_cmp_ne_u32_e32 vcc_lo, v11, v6
                                        ; implicit-def: $vgpr11
	s_and_saveexec_b32 s36, vcc_lo
	s_cbranch_execz .LBB44_15
; %bb.29:                               ;   in Loop: Header=BB44_22 Depth=2
	ds_cmpst_rtn_b32 v11, v12, v8, v6
	s_mov_b32 s37, 0
	s_waitcnt lgkmcnt(0)
	v_cmp_ne_u32_e32 vcc_lo, -1, v11
                                        ; implicit-def: $vgpr11
	s_and_saveexec_b32 s39, vcc_lo
	s_cbranch_execz .LBB44_14
; %bb.30:                               ;   in Loop: Header=BB44_22 Depth=2
	v_add_nc_u32_e32 v9, -4, v9
	v_add_nc_u32_e32 v11, 1, v10
	s_mov_b32 s37, exec_lo
	v_cmp_eq_u32_e32 vcc_lo, 0, v9
	s_orn2_b32 s38, vcc_lo, exec_lo
	s_branch .LBB44_14
.LBB44_31:                              ;   in Loop: Header=BB44_13 Depth=1
	s_or_b32 exec_lo, exec_lo, s18
	s_xor_b32 s18, s19, -1
	s_and_saveexec_b32 s19, s18
	s_xor_b32 s18, exec_lo, s19
	s_cbranch_execz .LBB44_12
; %bb.32:                               ;   in Loop: Header=BB44_13 Depth=1
	v_lshl_add_u32 v6, v10, 2, v0
	ds_write_b32 v6, v5
	s_branch .LBB44_12
.LBB44_33:
	s_or_b32 exec_lo, exec_lo, s6
	s_mov_b32 s7, exec_lo
	s_waitcnt vmcnt(0) lgkmcnt(0)
	buffer_gl0_inv
	v_cmpx_lt_i32_e64 v19, v18
	s_cbranch_execz .LBB44_63
; %bb.34:
	v_add_nc_u32_e32 v28, 1, v24
	s_mov_b32 s18, 0
	s_branch .LBB44_37
.LBB44_35:                              ;   in Loop: Header=BB44_37 Depth=1
	s_or_b32 exec_lo, exec_lo, s19
	v_add_nc_u32_e32 v19, 1, v19
	v_cmp_ge_i32_e32 vcc_lo, v19, v18
	s_orn2_b32 s19, vcc_lo, exec_lo
.LBB44_36:                              ;   in Loop: Header=BB44_37 Depth=1
	s_or_b32 exec_lo, exec_lo, s6
	s_and_b32 s6, exec_lo, s19
	s_or_b32 s18, s6, s18
	s_andn2_b32 exec_lo, exec_lo, s18
	s_cbranch_execz .LBB44_63
.LBB44_37:                              ; =>This Loop Header: Depth=1
                                        ;     Child Loop BB44_38 Depth 2
                                        ;     Child Loop BB44_43 Depth 2
                                        ;       Child Loop BB44_52 Depth 3
	v_ashrrev_i32_e32 v20, 31, v19
	s_mov_b32 s6, 0
	v_lshlrev_b64 v[5:6], 2, v[19:20]
	v_lshlrev_b64 v[7:8], 4, v[19:20]
	v_add_co_u32 v5, vcc_lo, s10, v5
	v_add_co_ci_u32_e64 v6, null, s11, v6, vcc_lo
	v_add_co_u32 v20, vcc_lo, s12, v7
	v_add_co_ci_u32_e64 v21, null, s13, v8, vcc_lo
	global_load_dword v5, v[5:6], off
	s_waitcnt vmcnt(0)
	v_subrev_nc_u32_e32 v5, s34, v5
	v_ashrrev_i32_e32 v6, 31, v5
	v_lshlrev_b64 v[9:10], 2, v[5:6]
	v_add_co_u32 v11, vcc_lo, s8, v9
	v_add_co_ci_u32_e64 v12, null, s9, v10, vcc_lo
	v_add_co_u32 v22, vcc_lo, s14, v9
	v_add_co_ci_u32_e64 v23, null, s15, v10, vcc_lo
	global_load_dwordx4 v[5:8], v[20:21], off
	global_load_dword v11, v[11:12], off offset:4
	global_load_dword v12, v[22:23], off
	v_add_co_u32 v9, vcc_lo, s16, v9
	v_add_co_ci_u32_e64 v10, null, s17, v10, vcc_lo
.LBB44_38:                              ;   Parent Loop BB44_37 Depth=1
                                        ; =>  This Inner Loop Header: Depth=2
	global_load_dword v22, v[9:10], off glc dlc
	s_waitcnt vmcnt(0)
	v_cmp_ne_u32_e32 vcc_lo, 0, v22
	s_or_b32 s6, vcc_lo, s6
	s_andn2_b32 exec_lo, exec_lo, s6
	s_cbranch_execnz .LBB44_38
; %bb.39:                               ;   in Loop: Header=BB44_37 Depth=1
	s_or_b32 exec_lo, exec_lo, s6
	v_subrev_nc_u32_e32 v29, s34, v11
	v_cmp_eq_u32_e32 vcc_lo, -1, v12
	buffer_gl1_inv
	buffer_gl0_inv
	s_mov_b32 s19, -1
	v_add_nc_u32_e32 v9, -1, v29
	v_cndmask_b32_e32 v22, v12, v9, vcc_lo
	v_ashrrev_i32_e32 v23, 31, v22
	v_lshlrev_b64 v[9:10], 4, v[22:23]
	v_add_co_u32 v9, vcc_lo, s12, v9
	v_add_co_ci_u32_e64 v10, null, s13, v10, vcc_lo
	global_load_dwordx4 v[9:12], v[9:10], off
	s_waitcnt vmcnt(0)
	v_cmp_neq_f64_e32 vcc_lo, 0, v[9:10]
	v_cmp_neq_f64_e64 s6, 0, v[11:12]
	s_or_b32 s26, vcc_lo, s6
	s_and_saveexec_b32 s6, s26
	s_cbranch_execz .LBB44_36
; %bb.40:                               ;   in Loop: Header=BB44_37 Depth=1
	v_mul_f64 v[30:31], v[11:12], v[11:12]
	s_mov_b32 s19, exec_lo
	v_fma_f64 v[30:31], v[9:10], v[9:10], v[30:31]
	v_div_scale_f64 v[32:33], null, v[30:31], v[30:31], 1.0
	v_div_scale_f64 v[38:39], vcc_lo, 1.0, v[30:31], 1.0
	v_rcp_f64_e32 v[34:35], v[32:33]
	v_fma_f64 v[36:37], -v[32:33], v[34:35], 1.0
	v_fma_f64 v[34:35], v[34:35], v[36:37], v[34:35]
	v_fma_f64 v[36:37], -v[32:33], v[34:35], 1.0
	v_fma_f64 v[34:35], v[34:35], v[36:37], v[34:35]
	v_mul_f64 v[36:37], v[38:39], v[34:35]
	v_fma_f64 v[32:33], -v[32:33], v[36:37], v[38:39]
	v_mul_f64 v[38:39], v[7:8], v[11:12]
	v_mul_f64 v[11:12], v[11:12], -v[5:6]
	v_div_fmas_f64 v[32:33], v[32:33], v[34:35], v[36:37]
	v_fma_f64 v[5:6], v[5:6], v[9:10], v[38:39]
	v_fma_f64 v[7:8], v[7:8], v[9:10], v[11:12]
	v_add_nc_u32_e32 v9, v28, v22
	v_div_fixup_f64 v[30:31], v[32:33], v[30:31], 1.0
	v_mul_f64 v[5:6], v[5:6], v[30:31]
	v_mul_f64 v[7:8], v[7:8], v[30:31]
	global_store_dwordx4 v[20:21], v[5:8], off
	v_cmpx_lt_i32_e64 v9, v29
	s_cbranch_execz .LBB44_35
; %bb.41:                               ;   in Loop: Header=BB44_37 Depth=1
	s_mov_b32 s26, 0
	s_branch .LBB44_43
.LBB44_42:                              ;   in Loop: Header=BB44_43 Depth=2
	s_or_b32 exec_lo, exec_lo, s27
	v_add_nc_u32_e32 v9, 32, v9
	v_cmp_ge_i32_e32 vcc_lo, v9, v29
	s_or_b32 s26, vcc_lo, s26
	s_andn2_b32 exec_lo, exec_lo, s26
	s_cbranch_execz .LBB44_35
.LBB44_43:                              ;   Parent Loop BB44_37 Depth=1
                                        ; =>  This Loop Header: Depth=2
                                        ;       Child Loop BB44_52 Depth 3
	v_ashrrev_i32_e32 v10, 31, v9
	s_mov_b32 s27, 0
                                        ; implicit-def: $sgpr28
                                        ; implicit-def: $sgpr29
                                        ; implicit-def: $sgpr30
	v_lshlrev_b64 v[11:12], 2, v[9:10]
	v_add_co_u32 v11, vcc_lo, s10, v11
	v_add_co_ci_u32_e64 v12, null, s11, v12, vcc_lo
	global_load_dword v11, v[11:12], off
	v_mov_b32_e32 v12, 0x200
	s_waitcnt vmcnt(0)
	v_mul_lo_u32 v21, 0x67, v11
	s_branch .LBB44_52
.LBB44_44:                              ;   in Loop: Header=BB44_52 Depth=3
	s_or_b32 exec_lo, exec_lo, s42
	s_orn2_b32 s40, s40, exec_lo
	s_orn2_b32 s41, s41, exec_lo
.LBB44_45:                              ;   in Loop: Header=BB44_52 Depth=3
	s_or_b32 exec_lo, exec_lo, s39
	s_and_b32 s40, s40, exec_lo
	s_orn2_b32 s39, s41, exec_lo
.LBB44_46:                              ;   in Loop: Header=BB44_52 Depth=3
	s_or_b32 exec_lo, exec_lo, s38
	s_orn2_b32 s38, s40, exec_lo
	s_orn2_b32 s39, s39, exec_lo
.LBB44_47:                              ;   in Loop: Header=BB44_52 Depth=3
	s_or_b32 exec_lo, exec_lo, s37
	s_and_b32 s38, s38, exec_lo
	s_orn2_b32 s37, s39, exec_lo
.LBB44_48:                              ;   in Loop: Header=BB44_52 Depth=3
	s_or_b32 exec_lo, exec_lo, s36
	s_orn2_b32 s36, s38, exec_lo
	s_orn2_b32 s37, s37, exec_lo
.LBB44_49:                              ;   in Loop: Header=BB44_52 Depth=3
	s_or_b32 exec_lo, exec_lo, s35
	s_and_b32 s36, s36, exec_lo
	s_orn2_b32 s35, s37, exec_lo
.LBB44_50:                              ;   in Loop: Header=BB44_52 Depth=3
	s_or_b32 exec_lo, exec_lo, s33
	s_andn2_b32 s30, s30, exec_lo
	s_and_b32 s33, s36, exec_lo
	s_andn2_b32 s29, s29, exec_lo
	s_and_b32 s35, s35, exec_lo
	s_or_b32 s30, s30, s33
	s_or_b32 s29, s29, s35
.LBB44_51:                              ;   in Loop: Header=BB44_52 Depth=3
	s_or_b32 exec_lo, exec_lo, s31
	s_and_b32 s31, exec_lo, s29
	s_or_b32 s27, s31, s27
	s_andn2_b32 s28, s28, exec_lo
	s_and_b32 s31, s30, exec_lo
	s_or_b32 s28, s28, s31
	s_andn2_b32 exec_lo, exec_lo, s27
	s_cbranch_execz .LBB44_61
.LBB44_52:                              ;   Parent Loop BB44_37 Depth=1
                                        ;     Parent Loop BB44_43 Depth=2
                                        ; =>    This Inner Loop Header: Depth=3
	v_and_b32_e32 v20, 0x1ff, v21
	s_or_b32 s30, s30, exec_lo
	s_or_b32 s29, s29, exec_lo
	s_mov_b32 s31, exec_lo
	v_lshl_add_u32 v22, v20, 2, v27
	ds_read_b32 v22, v22
	s_waitcnt lgkmcnt(0)
	v_cmpx_ne_u32_e32 -1, v22
	s_cbranch_execz .LBB44_51
; %bb.53:                               ;   in Loop: Header=BB44_52 Depth=3
	s_mov_b32 s35, -1
	s_mov_b32 s36, 0
	s_mov_b32 s33, exec_lo
	v_cmpx_ne_u32_e64 v22, v11
	s_cbranch_execz .LBB44_50
; %bb.54:                               ;   in Loop: Header=BB44_52 Depth=3
	v_add_nc_u32_e32 v20, 1, v21
	s_mov_b32 s37, -1
	s_mov_b32 s36, -1
	s_mov_b32 s35, exec_lo
	v_and_b32_e32 v20, 0x1ff, v20
	v_lshl_add_u32 v22, v20, 2, v27
	ds_read_b32 v22, v22
	s_waitcnt lgkmcnt(0)
	v_cmpx_ne_u32_e32 -1, v22
	s_cbranch_execz .LBB44_49
; %bb.55:                               ;   in Loop: Header=BB44_52 Depth=3
	s_mov_b32 s38, 0
	s_mov_b32 s36, exec_lo
	v_cmpx_ne_u32_e64 v22, v11
	s_cbranch_execz .LBB44_48
; %bb.56:                               ;   in Loop: Header=BB44_52 Depth=3
	v_add_nc_u32_e32 v20, 2, v21
	s_mov_b32 s39, -1
	s_mov_b32 s38, -1
	s_mov_b32 s37, exec_lo
	v_and_b32_e32 v20, 0x1ff, v20
	v_lshl_add_u32 v22, v20, 2, v27
	ds_read_b32 v22, v22
	s_waitcnt lgkmcnt(0)
	v_cmpx_ne_u32_e32 -1, v22
	s_cbranch_execz .LBB44_47
; %bb.57:                               ;   in Loop: Header=BB44_52 Depth=3
	s_mov_b32 s40, 0
	s_mov_b32 s38, exec_lo
	v_cmpx_ne_u32_e64 v22, v11
	s_cbranch_execz .LBB44_46
; %bb.58:                               ;   in Loop: Header=BB44_52 Depth=3
	v_add_nc_u32_e32 v20, 3, v21
	s_mov_b32 s41, -1
	s_mov_b32 s40, -1
	s_mov_b32 s39, exec_lo
	v_and_b32_e32 v20, 0x1ff, v20
	v_lshl_add_u32 v21, v20, 2, v27
	ds_read_b32 v22, v21
                                        ; implicit-def: $vgpr21
	s_waitcnt lgkmcnt(0)
	v_cmpx_ne_u32_e32 -1, v22
	s_cbranch_execz .LBB44_45
; %bb.59:                               ;   in Loop: Header=BB44_52 Depth=3
	s_mov_b32 s40, 0
	s_mov_b32 s42, exec_lo
                                        ; implicit-def: $vgpr21
	v_cmpx_ne_u32_e64 v22, v11
	s_cbranch_execz .LBB44_44
; %bb.60:                               ;   in Loop: Header=BB44_52 Depth=3
	v_add_nc_u32_e32 v12, -4, v12
	v_add_nc_u32_e32 v21, 1, v20
	s_mov_b32 s40, exec_lo
	v_cmp_eq_u32_e32 vcc_lo, 0, v12
	s_orn2_b32 s41, vcc_lo, exec_lo
	s_branch .LBB44_44
.LBB44_61:                              ;   in Loop: Header=BB44_43 Depth=2
	s_or_b32 exec_lo, exec_lo, s27
	s_xor_b32 s27, s28, -1
	s_and_saveexec_b32 s28, s27
	s_xor_b32 s27, exec_lo, s28
	s_cbranch_execz .LBB44_42
; %bb.62:                               ;   in Loop: Header=BB44_43 Depth=2
	v_lshl_add_u32 v11, v20, 2, v0
	v_lshlrev_b64 v[20:21], 4, v[9:10]
	ds_read_b32 v11, v11
	v_add_co_u32 v20, vcc_lo, s12, v20
	v_add_co_ci_u32_e64 v21, null, s13, v21, vcc_lo
	s_waitcnt lgkmcnt(0)
	v_ashrrev_i32_e32 v12, 31, v11
	v_lshlrev_b64 v[10:11], 4, v[11:12]
	v_add_co_u32 v10, vcc_lo, s12, v10
	v_add_co_ci_u32_e64 v11, null, s13, v11, vcc_lo
	s_clause 0x1
	global_load_dwordx4 v[20:23], v[20:21], off
	global_load_dwordx4 v[30:33], v[10:11], off
	s_waitcnt vmcnt(0)
	v_fma_f64 v[30:31], -v[5:6], v[20:21], v[30:31]
	v_fma_f64 v[32:33], -v[7:8], v[20:21], v[32:33]
	v_fma_f64 v[20:21], v[7:8], v[22:23], v[30:31]
	v_fma_f64 v[22:23], -v[5:6], v[22:23], v[32:33]
	global_store_dwordx4 v[10:11], v[20:23], off
	s_branch .LBB44_42
.LBB44_63:
	s_or_b32 exec_lo, exec_lo, s7
	s_mov_b32 s7, exec_lo
	s_waitcnt_vscnt null, 0x0
	buffer_gl0_inv
	v_cmpx_lt_i32_e32 -1, v18
	s_cbranch_execz .LBB44_85
; %bb.64:
	v_mov_b32_e32 v19, 0
	s_mov_b32 s6, exec_lo
	v_lshlrev_b64 v[5:6], 4, v[18:19]
	v_add_co_u32 v9, vcc_lo, s12, v5
	v_add_co_ci_u32_e64 v10, null, s13, v6, vcc_lo
	global_load_dwordx4 v[5:8], v[9:10], off
	s_waitcnt vmcnt(0)
	v_cmp_gt_f64_e32 vcc_lo, 0, v[5:6]
	v_xor_b32_e32 v0, 0x80000000, v6
	v_xor_b32_e32 v18, 0x80000000, v8
	v_mov_b32_e32 v11, v5
	v_mov_b32_e32 v20, v7
	v_cndmask_b32_e32 v12, v6, v0, vcc_lo
	v_cmp_gt_f64_e32 vcc_lo, 0, v[7:8]
	v_cndmask_b32_e32 v21, v8, v18, vcc_lo
                                        ; implicit-def: $vgpr18_vgpr19
	v_cmpx_ngt_f64_e32 v[11:12], v[20:21]
	s_xor_b32 s6, exec_lo, s6
	s_cbranch_execz .LBB44_68
; %bb.65:
	v_mov_b32_e32 v18, 0
	v_mov_b32_e32 v19, 0
	s_mov_b32 s8, exec_lo
	v_cmpx_neq_f64_e32 0, v[7:8]
	s_cbranch_execz .LBB44_67
; %bb.66:
	v_div_scale_f64 v[18:19], null, v[20:21], v[20:21], v[11:12]
	v_div_scale_f64 v[29:30], vcc_lo, v[11:12], v[20:21], v[11:12]
	v_rcp_f64_e32 v[22:23], v[18:19]
	v_fma_f64 v[27:28], -v[18:19], v[22:23], 1.0
	v_fma_f64 v[22:23], v[22:23], v[27:28], v[22:23]
	v_fma_f64 v[27:28], -v[18:19], v[22:23], 1.0
	v_fma_f64 v[22:23], v[22:23], v[27:28], v[22:23]
	v_mul_f64 v[27:28], v[29:30], v[22:23]
	v_fma_f64 v[18:19], -v[18:19], v[27:28], v[29:30]
	v_div_fmas_f64 v[18:19], v[18:19], v[22:23], v[27:28]
	v_div_fixup_f64 v[11:12], v[18:19], v[20:21], v[11:12]
	v_fma_f64 v[11:12], v[11:12], v[11:12], 1.0
	v_cmp_gt_f64_e32 vcc_lo, 0x10000000, v[11:12]
	v_cndmask_b32_e64 v0, 0, 0x100, vcc_lo
	v_ldexp_f64 v[11:12], v[11:12], v0
	v_cndmask_b32_e64 v0, 0, 0xffffff80, vcc_lo
	v_rsq_f64_e32 v[18:19], v[11:12]
	v_cmp_class_f64_e64 vcc_lo, v[11:12], 0x260
	v_mul_f64 v[22:23], v[11:12], v[18:19]
	v_mul_f64 v[18:19], v[18:19], 0.5
	v_fma_f64 v[27:28], -v[18:19], v[22:23], 0.5
	v_fma_f64 v[22:23], v[22:23], v[27:28], v[22:23]
	v_fma_f64 v[18:19], v[18:19], v[27:28], v[18:19]
	v_fma_f64 v[27:28], -v[22:23], v[22:23], v[11:12]
	v_fma_f64 v[22:23], v[27:28], v[18:19], v[22:23]
	v_fma_f64 v[27:28], -v[22:23], v[22:23], v[11:12]
	v_fma_f64 v[18:19], v[27:28], v[18:19], v[22:23]
	v_ldexp_f64 v[18:19], v[18:19], v0
	v_cndmask_b32_e32 v12, v19, v12, vcc_lo
	v_cndmask_b32_e32 v11, v18, v11, vcc_lo
	v_mul_f64 v[18:19], v[20:21], v[11:12]
.LBB44_67:
	s_or_b32 exec_lo, exec_lo, s8
                                        ; implicit-def: $vgpr11_vgpr12
                                        ; implicit-def: $vgpr20_vgpr21
.LBB44_68:
	s_andn2_saveexec_b32 s6, s6
	s_cbranch_execz .LBB44_70
; %bb.69:
	v_div_scale_f64 v[18:19], null, v[11:12], v[11:12], v[20:21]
	v_div_scale_f64 v[29:30], vcc_lo, v[20:21], v[11:12], v[20:21]
	v_rcp_f64_e32 v[22:23], v[18:19]
	v_fma_f64 v[27:28], -v[18:19], v[22:23], 1.0
	v_fma_f64 v[22:23], v[22:23], v[27:28], v[22:23]
	v_fma_f64 v[27:28], -v[18:19], v[22:23], 1.0
	v_fma_f64 v[22:23], v[22:23], v[27:28], v[22:23]
	v_mul_f64 v[27:28], v[29:30], v[22:23]
	v_fma_f64 v[18:19], -v[18:19], v[27:28], v[29:30]
	v_div_fmas_f64 v[18:19], v[18:19], v[22:23], v[27:28]
	v_div_fixup_f64 v[18:19], v[18:19], v[11:12], v[20:21]
	v_fma_f64 v[18:19], v[18:19], v[18:19], 1.0
	v_cmp_gt_f64_e32 vcc_lo, 0x10000000, v[18:19]
	v_cndmask_b32_e64 v0, 0, 0x100, vcc_lo
	v_ldexp_f64 v[18:19], v[18:19], v0
	v_cndmask_b32_e64 v0, 0, 0xffffff80, vcc_lo
	v_rsq_f64_e32 v[20:21], v[18:19]
	v_cmp_class_f64_e64 vcc_lo, v[18:19], 0x260
	v_mul_f64 v[22:23], v[18:19], v[20:21]
	v_mul_f64 v[20:21], v[20:21], 0.5
	v_fma_f64 v[27:28], -v[20:21], v[22:23], 0.5
	v_fma_f64 v[22:23], v[22:23], v[27:28], v[22:23]
	v_fma_f64 v[20:21], v[20:21], v[27:28], v[20:21]
	v_fma_f64 v[27:28], -v[22:23], v[22:23], v[18:19]
	v_fma_f64 v[22:23], v[27:28], v[20:21], v[22:23]
	v_fma_f64 v[27:28], -v[22:23], v[22:23], v[18:19]
	v_fma_f64 v[20:21], v[27:28], v[20:21], v[22:23]
	v_ldexp_f64 v[20:21], v[20:21], v0
	v_cndmask_b32_e32 v19, v21, v19, vcc_lo
	v_cndmask_b32_e32 v18, v20, v18, vcc_lo
	v_mul_f64 v[18:19], v[11:12], v[18:19]
.LBB44_70:
	s_or_b32 exec_lo, exec_lo, s6
	v_cmp_ne_u32_e32 vcc_lo, 1, v26
	v_cmp_eq_u32_e64 s6, 0, v24
	s_mov_b32 s8, -1
	s_cbranch_vccnz .LBB44_74
; %bb.71:
	v_cvt_f64_f32_e32 v[11:12], v25
	s_cmp_eq_u64 s[24:25], 8
	s_cselect_b32 vcc_lo, -1, 0
	v_cndmask_b32_e32 v12, v12, v16, vcc_lo
	v_cndmask_b32_e32 v11, v11, v15, vcc_lo
	v_cmp_le_f64_e32 vcc_lo, v[18:19], v[11:12]
	s_and_b32 s9, s6, vcc_lo
	s_and_saveexec_b32 s8, s9
	s_cbranch_execz .LBB44_73
; %bb.72:
	global_store_dwordx4 v[9:10], v[1:4], off
	s_waitcnt_vscnt null, 0x0
	buffer_gl1_inv
	buffer_gl0_inv
.LBB44_73:
	s_or_b32 exec_lo, exec_lo, s8
	s_mov_b32 s8, 0
.LBB44_74:
	s_andn2_b32 vcc_lo, exec_lo, s8
	s_cbranch_vccnz .LBB44_85
; %bb.75:
	s_load_dwordx2 s[4:5], s[4:5], 0x48
	v_add_nc_u32_e32 v0, s34, v17
	s_waitcnt lgkmcnt(0)
	v_cmp_ge_f64_e32 vcc_lo, s[4:5], v[18:19]
	s_and_b32 s5, s6, vcc_lo
	s_and_saveexec_b32 s4, s5
	s_cbranch_execz .LBB44_80
; %bb.76:
	s_mov_b32 s8, exec_lo
	s_brev_b32 s5, -2
.LBB44_77:                              ; =>This Inner Loop Header: Depth=1
	s_ff1_i32_b32 s9, s8
	v_readlane_b32 s10, v0, s9
	s_lshl_b32 s9, 1, s9
	s_andn2_b32 s8, s8, s9
	s_min_i32 s5, s5, s10
	s_cmp_lg_u32 s8, 0
	s_cbranch_scc1 .LBB44_77
; %bb.78:
	v_mbcnt_lo_u32_b32 v1, exec_lo, 0
	s_mov_b32 s8, exec_lo
	v_cmpx_eq_u32_e32 0, v1
	s_xor_b32 s8, exec_lo, s8
	s_cbranch_execz .LBB44_80
; %bb.79:
	v_mov_b32_e32 v1, 0
	v_mov_b32_e32 v2, s5
	global_atomic_smin v1, v2, s[22:23]
.LBB44_80:
	s_or_b32 exec_lo, exec_lo, s4
	v_cmp_eq_f64_e32 vcc_lo, 0, v[5:6]
	v_cmp_eq_f64_e64 s4, 0, v[7:8]
	s_and_b32 s4, vcc_lo, s4
	s_and_b32 s4, s6, s4
	s_and_b32 exec_lo, exec_lo, s4
	s_cbranch_execz .LBB44_85
; %bb.81:
	s_mov_b32 s5, exec_lo
	s_brev_b32 s4, -2
.LBB44_82:                              ; =>This Inner Loop Header: Depth=1
	s_ff1_i32_b32 s6, s5
	v_readlane_b32 s8, v0, s6
	s_lshl_b32 s6, 1, s6
	s_andn2_b32 s5, s5, s6
	s_min_i32 s4, s4, s8
	s_cmp_lg_u32 s5, 0
	s_cbranch_scc1 .LBB44_82
; %bb.83:
	v_mbcnt_lo_u32_b32 v0, exec_lo, 0
	s_mov_b32 s5, exec_lo
	v_cmpx_eq_u32_e32 0, v0
	s_xor_b32 s5, exec_lo, s5
	s_cbranch_execz .LBB44_85
; %bb.84:
	v_mov_b32_e32 v0, 0
	v_mov_b32_e32 v1, s4
	global_atomic_smin v0, v1, s[20:21]
.LBB44_85:
	s_or_b32 exec_lo, exec_lo, s7
	v_cmp_eq_u32_e32 vcc_lo, 0, v24
	s_waitcnt_vscnt null, 0x0
	buffer_gl1_inv
	buffer_gl0_inv
	s_and_b32 exec_lo, exec_lo, vcc_lo
	s_cbranch_execz .LBB44_87
; %bb.86:
	v_add_co_u32 v0, vcc_lo, s16, v13
	v_add_co_ci_u32_e64 v1, null, s17, v14, vcc_lo
	v_mov_b32_e32 v2, 1
	global_store_dword v[0:1], v2, off
.LBB44_87:
	s_endpgm
	.section	.rodata,"a",@progbits
	.p2align	6, 0x0
	.amdhsa_kernel _ZN9rocsparseL12csrilu0_hashILj256ELj32ELj16E21rocsparse_complex_numIdEEEviPKiS4_PT2_S4_PiS4_S7_S7_d21rocsparse_index_base_imNS_24const_host_device_scalarIfEENS9_IdEENS9_IS5_EEb
		.amdhsa_group_segment_fixed_size 32768
		.amdhsa_private_segment_fixed_size 16
		.amdhsa_kernarg_size 132
		.amdhsa_user_sgpr_count 8
		.amdhsa_user_sgpr_private_segment_buffer 1
		.amdhsa_user_sgpr_dispatch_ptr 0
		.amdhsa_user_sgpr_queue_ptr 0
		.amdhsa_user_sgpr_kernarg_segment_ptr 1
		.amdhsa_user_sgpr_dispatch_id 0
		.amdhsa_user_sgpr_flat_scratch_init 1
		.amdhsa_user_sgpr_private_segment_size 0
		.amdhsa_wavefront_size32 1
		.amdhsa_uses_dynamic_stack 0
		.amdhsa_system_sgpr_private_segment_wavefront_offset 1
		.amdhsa_system_sgpr_workgroup_id_x 1
		.amdhsa_system_sgpr_workgroup_id_y 0
		.amdhsa_system_sgpr_workgroup_id_z 0
		.amdhsa_system_sgpr_workgroup_info 0
		.amdhsa_system_vgpr_workitem_id 0
		.amdhsa_next_free_vgpr 113
		.amdhsa_next_free_sgpr 43
		.amdhsa_reserve_vcc 1
		.amdhsa_reserve_flat_scratch 1
		.amdhsa_float_round_mode_32 0
		.amdhsa_float_round_mode_16_64 0
		.amdhsa_float_denorm_mode_32 3
		.amdhsa_float_denorm_mode_16_64 3
		.amdhsa_dx10_clamp 1
		.amdhsa_ieee_mode 1
		.amdhsa_fp16_overflow 0
		.amdhsa_workgroup_processor_mode 1
		.amdhsa_memory_ordered 1
		.amdhsa_forward_progress 1
		.amdhsa_shared_vgpr_count 0
		.amdhsa_exception_fp_ieee_invalid_op 0
		.amdhsa_exception_fp_denorm_src 0
		.amdhsa_exception_fp_ieee_div_zero 0
		.amdhsa_exception_fp_ieee_overflow 0
		.amdhsa_exception_fp_ieee_underflow 0
		.amdhsa_exception_fp_ieee_inexact 0
		.amdhsa_exception_int_div_zero 0
	.end_amdhsa_kernel
	.section	.text._ZN9rocsparseL12csrilu0_hashILj256ELj32ELj16E21rocsparse_complex_numIdEEEviPKiS4_PT2_S4_PiS4_S7_S7_d21rocsparse_index_base_imNS_24const_host_device_scalarIfEENS9_IdEENS9_IS5_EEb,"axG",@progbits,_ZN9rocsparseL12csrilu0_hashILj256ELj32ELj16E21rocsparse_complex_numIdEEEviPKiS4_PT2_S4_PiS4_S7_S7_d21rocsparse_index_base_imNS_24const_host_device_scalarIfEENS9_IdEENS9_IS5_EEb,comdat
.Lfunc_end44:
	.size	_ZN9rocsparseL12csrilu0_hashILj256ELj32ELj16E21rocsparse_complex_numIdEEEviPKiS4_PT2_S4_PiS4_S7_S7_d21rocsparse_index_base_imNS_24const_host_device_scalarIfEENS9_IdEENS9_IS5_EEb, .Lfunc_end44-_ZN9rocsparseL12csrilu0_hashILj256ELj32ELj16E21rocsparse_complex_numIdEEEviPKiS4_PT2_S4_PiS4_S7_S7_d21rocsparse_index_base_imNS_24const_host_device_scalarIfEENS9_IdEENS9_IS5_EEb
                                        ; -- End function
	.set _ZN9rocsparseL12csrilu0_hashILj256ELj32ELj16E21rocsparse_complex_numIdEEEviPKiS4_PT2_S4_PiS4_S7_S7_d21rocsparse_index_base_imNS_24const_host_device_scalarIfEENS9_IdEENS9_IS5_EEb.num_vgpr, 40
	.set _ZN9rocsparseL12csrilu0_hashILj256ELj32ELj16E21rocsparse_complex_numIdEEEviPKiS4_PT2_S4_PiS4_S7_S7_d21rocsparse_index_base_imNS_24const_host_device_scalarIfEENS9_IdEENS9_IS5_EEb.num_agpr, 0
	.set _ZN9rocsparseL12csrilu0_hashILj256ELj32ELj16E21rocsparse_complex_numIdEEEviPKiS4_PT2_S4_PiS4_S7_S7_d21rocsparse_index_base_imNS_24const_host_device_scalarIfEENS9_IdEENS9_IS5_EEb.numbered_sgpr, 43
	.set _ZN9rocsparseL12csrilu0_hashILj256ELj32ELj16E21rocsparse_complex_numIdEEEviPKiS4_PT2_S4_PiS4_S7_S7_d21rocsparse_index_base_imNS_24const_host_device_scalarIfEENS9_IdEENS9_IS5_EEb.num_named_barrier, 0
	.set _ZN9rocsparseL12csrilu0_hashILj256ELj32ELj16E21rocsparse_complex_numIdEEEviPKiS4_PT2_S4_PiS4_S7_S7_d21rocsparse_index_base_imNS_24const_host_device_scalarIfEENS9_IdEENS9_IS5_EEb.private_seg_size, 16
	.set _ZN9rocsparseL12csrilu0_hashILj256ELj32ELj16E21rocsparse_complex_numIdEEEviPKiS4_PT2_S4_PiS4_S7_S7_d21rocsparse_index_base_imNS_24const_host_device_scalarIfEENS9_IdEENS9_IS5_EEb.uses_vcc, 1
	.set _ZN9rocsparseL12csrilu0_hashILj256ELj32ELj16E21rocsparse_complex_numIdEEEviPKiS4_PT2_S4_PiS4_S7_S7_d21rocsparse_index_base_imNS_24const_host_device_scalarIfEENS9_IdEENS9_IS5_EEb.uses_flat_scratch, 1
	.set _ZN9rocsparseL12csrilu0_hashILj256ELj32ELj16E21rocsparse_complex_numIdEEEviPKiS4_PT2_S4_PiS4_S7_S7_d21rocsparse_index_base_imNS_24const_host_device_scalarIfEENS9_IdEENS9_IS5_EEb.has_dyn_sized_stack, 0
	.set _ZN9rocsparseL12csrilu0_hashILj256ELj32ELj16E21rocsparse_complex_numIdEEEviPKiS4_PT2_S4_PiS4_S7_S7_d21rocsparse_index_base_imNS_24const_host_device_scalarIfEENS9_IdEENS9_IS5_EEb.has_recursion, 0
	.set _ZN9rocsparseL12csrilu0_hashILj256ELj32ELj16E21rocsparse_complex_numIdEEEviPKiS4_PT2_S4_PiS4_S7_S7_d21rocsparse_index_base_imNS_24const_host_device_scalarIfEENS9_IdEENS9_IS5_EEb.has_indirect_call, 0
	.section	.AMDGPU.csdata,"",@progbits
; Kernel info:
; codeLenInByte = 3520
; TotalNumSgprs: 45
; NumVgprs: 40
; ScratchSize: 16
; MemoryBound: 0
; FloatMode: 240
; IeeeMode: 1
; LDSByteSize: 32768 bytes/workgroup (compile time only)
; SGPRBlocks: 0
; VGPRBlocks: 14
; NumSGPRsForWavesPerEU: 45
; NumVGPRsForWavesPerEU: 113
; Occupancy: 8
; WaveLimiterHint : 1
; COMPUTE_PGM_RSRC2:SCRATCH_EN: 1
; COMPUTE_PGM_RSRC2:USER_SGPR: 8
; COMPUTE_PGM_RSRC2:TRAP_HANDLER: 0
; COMPUTE_PGM_RSRC2:TGID_X_EN: 1
; COMPUTE_PGM_RSRC2:TGID_Y_EN: 0
; COMPUTE_PGM_RSRC2:TGID_Z_EN: 0
; COMPUTE_PGM_RSRC2:TIDIG_COMP_CNT: 0
	.section	.text._ZN9rocsparseL17csrilu0_binsearchILj256ELj32ELb0E21rocsparse_complex_numIdEEEviPKiS4_PT2_S4_PiS4_S7_S7_d21rocsparse_index_base_imNS_24const_host_device_scalarIfEENS9_IdEENS9_IS5_EEb,"axG",@progbits,_ZN9rocsparseL17csrilu0_binsearchILj256ELj32ELb0E21rocsparse_complex_numIdEEEviPKiS4_PT2_S4_PiS4_S7_S7_d21rocsparse_index_base_imNS_24const_host_device_scalarIfEENS9_IdEENS9_IS5_EEb,comdat
	.globl	_ZN9rocsparseL17csrilu0_binsearchILj256ELj32ELb0E21rocsparse_complex_numIdEEEviPKiS4_PT2_S4_PiS4_S7_S7_d21rocsparse_index_base_imNS_24const_host_device_scalarIfEENS9_IdEENS9_IS5_EEb ; -- Begin function _ZN9rocsparseL17csrilu0_binsearchILj256ELj32ELb0E21rocsparse_complex_numIdEEEviPKiS4_PT2_S4_PiS4_S7_S7_d21rocsparse_index_base_imNS_24const_host_device_scalarIfEENS9_IdEENS9_IS5_EEb
	.p2align	8
	.type	_ZN9rocsparseL17csrilu0_binsearchILj256ELj32ELb0E21rocsparse_complex_numIdEEEviPKiS4_PT2_S4_PiS4_S7_S7_d21rocsparse_index_base_imNS_24const_host_device_scalarIfEENS9_IdEENS9_IS5_EEb,@function
_ZN9rocsparseL17csrilu0_binsearchILj256ELj32ELb0E21rocsparse_complex_numIdEEEviPKiS4_PT2_S4_PiS4_S7_S7_d21rocsparse_index_base_imNS_24const_host_device_scalarIfEENS9_IdEENS9_IS5_EEb: ; @_ZN9rocsparseL17csrilu0_binsearchILj256ELj32ELb0E21rocsparse_complex_numIdEEEviPKiS4_PT2_S4_PiS4_S7_S7_d21rocsparse_index_base_imNS_24const_host_device_scalarIfEENS9_IdEENS9_IS5_EEb
; %bb.0:
	s_add_u32 s6, s6, s9
	s_addc_u32 s7, s7, 0
	s_setreg_b32 hwreg(HW_REG_FLAT_SCR_LO), s6
	s_setreg_b32 hwreg(HW_REG_FLAT_SCR_HI), s7
	s_add_u32 s0, s0, s9
	s_clause 0x3
	s_load_dword s9, s[4:5], 0x80
	s_load_dwordx2 s[34:35], s[4:5], 0x50
	s_load_dwordx8 s[24:31], s[4:5], 0x58
	s_load_dwordx2 s[6:7], s[4:5], 0x78
	s_addc_u32 s1, s1, 0
	s_waitcnt lgkmcnt(0)
	s_bitcmp1_b32 s9, 0
	s_cselect_b32 s9, -1, 0
	s_cmp_eq_u32 s35, 0
	v_mov_b32_e32 v1, s31
	s_cselect_b32 s14, -1, 0
	s_cmp_lg_u32 s35, 0
	v_mov_b32_e32 v2, s30
	s_cselect_b32 s12, -1, 0
	s_or_b32 s15, s14, s9
	buffer_store_dword v1, off, s[0:3], 0 offset:4
	s_xor_b32 s13, s15, -1
	s_and_b32 s10, s14, exec_lo
	s_cselect_b32 s11, 0, s29
	s_cselect_b32 s10, 0, s28
	s_and_b32 vcc_lo, exec_lo, s15
	buffer_store_dword v2, off, s[0:3], 0
	s_cbranch_vccnz .LBB45_2
; %bb.1:
	s_load_dword s10, s[26:27], 0x0
	s_waitcnt lgkmcnt(0)
	v_mov_b32_e32 v24, s10
	s_mov_b64 s[10:11], s[28:29]
	v_mov_b32_e32 v16, s11
	v_mov_b32_e32 v15, s10
	s_andn2_b32 vcc_lo, exec_lo, s13
	s_cbranch_vccz .LBB45_3
	s_branch .LBB45_4
.LBB45_2:
	v_cndmask_b32_e64 v24, s26, 0, s14
	v_mov_b32_e32 v16, s11
	v_mov_b32_e32 v15, s10
	s_andn2_b32 vcc_lo, exec_lo, s13
	s_cbranch_vccnz .LBB45_4
.LBB45_3:
	v_mov_b32_e32 v1, s28
	v_mov_b32_e32 v2, s29
	flat_load_dwordx2 v[15:16], v[1:2]
.LBB45_4:
	v_mov_b32_e32 v1, 0
	v_mov_b32_e32 v3, 0
	v_cndmask_b32_e64 v25, 0, 1, s12
	v_mov_b32_e32 v2, 0
	v_mov_b32_e32 v4, 0
	s_andn2_b32 vcc_lo, exec_lo, s12
	s_cbranch_vccnz .LBB45_7
; %bb.5:
	s_mov_b64 s[10:11], src_private_base
	s_xor_b32 s10, s9, -1
	s_and_b32 s9, s9, exec_lo
	s_cselect_b32 s9, 0, s30
	s_cselect_b32 s11, s11, s31
	v_mov_b32_e32 v1, s9
	v_mov_b32_e32 v2, s11
	;; [unrolled: 1-line block ×4, first 2 shown]
	s_andn2_b32 vcc_lo, exec_lo, s10
	flat_load_dwordx2 v[1:2], v[1:2]
	s_cbranch_vccnz .LBB45_7
; %bb.6:
	v_mov_b32_e32 v3, s30
	v_mov_b32_e32 v4, s31
	flat_load_dwordx2 v[3:4], v[3:4] offset:8
.LBB45_7:
	s_load_dword s6, s[4:5], 0x0
	v_lshrrev_b32_e32 v5, 5, v0
	s_lshl_b32 s7, s8, 3
	v_and_or_b32 v5, 0x7fffff8, s7, v5
	s_waitcnt lgkmcnt(0)
	v_cmp_gt_i32_e32 vcc_lo, s6, v5
	s_and_saveexec_b32 s6, vcc_lo
	s_cbranch_execz .LBB45_49
; %bb.8:
	s_load_dwordx16 s[8:23], s[4:5], 0x8
	v_lshlrev_b32_e32 v5, 2, v5
	v_and_b32_e32 v0, 31, v0
	s_mov_b32 s7, exec_lo
	s_waitcnt lgkmcnt(0)
	global_load_dword v17, v5, s[18:19]
	s_waitcnt vmcnt(0)
	v_ashrrev_i32_e32 v18, 31, v17
	v_lshlrev_b64 v[13:14], 2, v[17:18]
	v_add_co_u32 v5, vcc_lo, s8, v13
	v_add_co_ci_u32_e64 v6, null, s9, v14, vcc_lo
	v_add_co_u32 v7, vcc_lo, s14, v13
	v_add_co_ci_u32_e64 v8, null, s15, v14, vcc_lo
	global_load_dword v9, v[5:6], off
	global_load_dword v18, v[7:8], off
	s_waitcnt vmcnt(1)
	v_subrev_nc_u32_e32 v19, s34, v9
	s_waitcnt vmcnt(0)
	v_cmpx_lt_i32_e64 v19, v18
	s_cbranch_execz .LBB45_25
; %bb.9:
	global_load_dword v5, v[5:6], off offset:4
	v_add_nc_u32_e32 v26, 1, v0
	s_mov_b32 s18, 0
	s_waitcnt vmcnt(0)
	v_xad_u32 v27, s34, -1, v5
	s_branch .LBB45_12
.LBB45_10:                              ;   in Loop: Header=BB45_12 Depth=1
	s_or_b32 exec_lo, exec_lo, s19
	v_cmp_ge_i32_e32 vcc_lo, v19, v18
	s_orn2_b32 s19, vcc_lo, exec_lo
.LBB45_11:                              ;   in Loop: Header=BB45_12 Depth=1
	s_or_b32 exec_lo, exec_lo, s6
	s_and_b32 s6, exec_lo, s19
	s_or_b32 s18, s6, s18
	s_andn2_b32 exec_lo, exec_lo, s18
	s_cbranch_execz .LBB45_25
.LBB45_12:                              ; =>This Loop Header: Depth=1
                                        ;     Child Loop BB45_14 Depth 2
                                        ;     Child Loop BB45_19 Depth 2
                                        ;       Child Loop BB45_21 Depth 3
	v_ashrrev_i32_e32 v20, 31, v19
	s_mov_b32 s6, exec_lo
	v_lshlrev_b64 v[5:6], 2, v[19:20]
	v_lshlrev_b64 v[7:8], 4, v[19:20]
	v_add_co_u32 v5, vcc_lo, s10, v5
	v_add_co_ci_u32_e64 v6, null, s11, v6, vcc_lo
	v_add_co_u32 v20, vcc_lo, s12, v7
	v_add_co_ci_u32_e64 v21, null, s13, v8, vcc_lo
	global_load_dword v5, v[5:6], off
	s_waitcnt vmcnt(0)
	v_subrev_nc_u32_e32 v5, s34, v5
	v_ashrrev_i32_e32 v6, 31, v5
	v_lshlrev_b64 v[5:6], 2, v[5:6]
	v_add_co_u32 v11, vcc_lo, s8, v5
	v_add_co_ci_u32_e64 v12, null, s9, v6, vcc_lo
	v_add_co_u32 v22, vcc_lo, s14, v5
	v_add_co_ci_u32_e64 v23, null, s15, v6, vcc_lo
	v_add_co_u32 v9, vcc_lo, s16, v5
	v_add_co_ci_u32_e64 v10, null, s17, v6, vcc_lo
	global_load_dwordx4 v[5:8], v[20:21], off
	global_load_dword v12, v[11:12], off offset:4
	global_load_dword v11, v[22:23], off
	global_load_dword v22, v[9:10], off glc dlc
	s_waitcnt vmcnt(0)
	v_cmpx_eq_u32_e32 0, v22
	s_cbranch_execz .LBB45_15
; %bb.13:                               ;   in Loop: Header=BB45_12 Depth=1
	s_mov_b32 s19, 0
.LBB45_14:                              ;   Parent Loop BB45_12 Depth=1
                                        ; =>  This Inner Loop Header: Depth=2
	global_load_dword v22, v[9:10], off glc dlc
	s_waitcnt vmcnt(0)
	v_cmp_ne_u32_e32 vcc_lo, 0, v22
	s_or_b32 s19, vcc_lo, s19
	s_andn2_b32 exec_lo, exec_lo, s19
	s_cbranch_execnz .LBB45_14
.LBB45_15:                              ;   in Loop: Header=BB45_12 Depth=1
	s_or_b32 exec_lo, exec_lo, s6
	v_subrev_nc_u32_e32 v28, s34, v12
	v_cmp_eq_u32_e32 vcc_lo, -1, v11
	s_waitcnt_vscnt null, 0x0
	buffer_gl1_inv
	buffer_gl0_inv
	s_mov_b32 s19, -1
	v_add_nc_u32_e32 v9, -1, v28
	v_cndmask_b32_e32 v22, v11, v9, vcc_lo
	v_ashrrev_i32_e32 v23, 31, v22
	v_lshlrev_b64 v[9:10], 4, v[22:23]
	v_add_co_u32 v9, vcc_lo, s12, v9
	v_add_co_ci_u32_e64 v10, null, s13, v10, vcc_lo
	global_load_dwordx4 v[9:12], v[9:10], off
	s_waitcnt vmcnt(0)
	v_cmp_neq_f64_e32 vcc_lo, 0, v[9:10]
	v_cmp_neq_f64_e64 s6, 0, v[11:12]
	s_or_b32 s6, vcc_lo, s6
	s_and_saveexec_b32 s26, s6
	s_xor_b32 s6, exec_lo, s26
	s_cbranch_execz .LBB45_11
; %bb.16:                               ;   in Loop: Header=BB45_12 Depth=1
	v_mul_f64 v[29:30], v[11:12], v[11:12]
	v_add_nc_u32_e32 v19, 1, v19
	s_mov_b32 s19, exec_lo
	v_fma_f64 v[29:30], v[9:10], v[9:10], v[29:30]
	v_div_scale_f64 v[31:32], null, v[29:30], v[29:30], 1.0
	v_div_scale_f64 v[37:38], vcc_lo, 1.0, v[29:30], 1.0
	v_rcp_f64_e32 v[33:34], v[31:32]
	v_fma_f64 v[35:36], -v[31:32], v[33:34], 1.0
	v_fma_f64 v[33:34], v[33:34], v[35:36], v[33:34]
	v_fma_f64 v[35:36], -v[31:32], v[33:34], 1.0
	v_fma_f64 v[33:34], v[33:34], v[35:36], v[33:34]
	v_mul_f64 v[35:36], v[37:38], v[33:34]
	v_fma_f64 v[31:32], -v[31:32], v[35:36], v[37:38]
	v_mul_f64 v[37:38], v[7:8], v[11:12]
	v_mul_f64 v[11:12], v[11:12], -v[5:6]
	v_div_fmas_f64 v[31:32], v[31:32], v[33:34], v[35:36]
	v_fma_f64 v[5:6], v[5:6], v[9:10], v[37:38]
	v_fma_f64 v[7:8], v[7:8], v[9:10], v[11:12]
	v_add_nc_u32_e32 v9, v26, v22
	v_div_fixup_f64 v[29:30], v[31:32], v[29:30], 1.0
	v_mul_f64 v[5:6], v[5:6], v[29:30]
	v_mul_f64 v[7:8], v[7:8], v[29:30]
	global_store_dwordx4 v[20:21], v[5:8], off
	v_cmpx_lt_i32_e64 v9, v28
	s_cbranch_execz .LBB45_10
; %bb.17:                               ;   in Loop: Header=BB45_12 Depth=1
	v_mov_b32_e32 v11, v19
	s_mov_b32 s26, 0
	s_branch .LBB45_19
.LBB45_18:                              ;   in Loop: Header=BB45_19 Depth=2
	s_or_b32 exec_lo, exec_lo, s27
	v_add_nc_u32_e32 v9, 32, v9
	v_cmp_ge_i32_e32 vcc_lo, v9, v28
	s_or_b32 s26, vcc_lo, s26
	s_andn2_b32 exec_lo, exec_lo, s26
	s_cbranch_execz .LBB45_10
.LBB45_19:                              ;   Parent Loop BB45_12 Depth=1
                                        ; =>  This Loop Header: Depth=2
                                        ;       Child Loop BB45_21 Depth 3
	v_add_nc_u32_e32 v10, v11, v27
	s_mov_b32 s27, exec_lo
	v_ashrrev_i32_e32 v20, 1, v10
	v_ashrrev_i32_e32 v10, 31, v9
	;; [unrolled: 1-line block ×3, first 2 shown]
	v_lshlrev_b64 v[22:23], 2, v[9:10]
	v_lshlrev_b64 v[29:30], 2, v[20:21]
	v_add_co_u32 v21, vcc_lo, s10, v22
	v_add_co_ci_u32_e64 v22, null, s11, v23, vcc_lo
	v_add_co_u32 v29, vcc_lo, s10, v29
	v_add_co_ci_u32_e64 v30, null, s11, v30, vcc_lo
	s_clause 0x1
	global_load_dword v12, v[21:22], off
	global_load_dword v21, v[29:30], off
	v_cmpx_lt_i32_e64 v11, v27
	s_cbranch_execz .LBB45_23
; %bb.20:                               ;   in Loop: Header=BB45_19 Depth=2
	v_mov_b32_e32 v22, v27
	s_mov_b32 s28, 0
	.p2align	6
.LBB45_21:                              ;   Parent Loop BB45_12 Depth=1
                                        ;     Parent Loop BB45_19 Depth=2
                                        ; =>    This Inner Loop Header: Depth=3
	v_add_nc_u32_e32 v23, 1, v20
	s_waitcnt vmcnt(0)
	v_cmp_lt_i32_e32 vcc_lo, v21, v12
	v_cndmask_b32_e32 v22, v20, v22, vcc_lo
	v_cndmask_b32_e32 v11, v11, v23, vcc_lo
	v_add_nc_u32_e32 v20, v22, v11
	v_ashrrev_i32_e32 v20, 1, v20
	v_ashrrev_i32_e32 v21, 31, v20
	v_lshlrev_b64 v[29:30], 2, v[20:21]
	v_add_co_u32 v29, vcc_lo, s10, v29
	v_add_co_ci_u32_e64 v30, null, s11, v30, vcc_lo
	v_cmp_ge_i32_e32 vcc_lo, v11, v22
	global_load_dword v21, v[29:30], off
	s_or_b32 s28, vcc_lo, s28
	s_andn2_b32 exec_lo, exec_lo, s28
	s_cbranch_execnz .LBB45_21
; %bb.22:                               ;   in Loop: Header=BB45_19 Depth=2
	s_or_b32 exec_lo, exec_lo, s28
.LBB45_23:                              ;   in Loop: Header=BB45_19 Depth=2
	s_or_b32 exec_lo, exec_lo, s27
	s_mov_b32 s27, exec_lo
	s_waitcnt vmcnt(0)
	v_cmpx_eq_u32_e64 v21, v12
	s_cbranch_execz .LBB45_18
; %bb.24:                               ;   in Loop: Header=BB45_19 Depth=2
	v_ashrrev_i32_e32 v12, 31, v11
	v_lshlrev_b64 v[20:21], 4, v[9:10]
	v_lshlrev_b64 v[22:23], 4, v[11:12]
	v_add_co_u32 v20, vcc_lo, s12, v20
	v_add_co_ci_u32_e64 v21, null, s13, v21, vcc_lo
	v_add_co_u32 v33, vcc_lo, s12, v22
	v_add_co_ci_u32_e64 v34, null, s13, v23, vcc_lo
	s_clause 0x1
	global_load_dwordx4 v[20:23], v[20:21], off
	global_load_dwordx4 v[29:32], v[33:34], off
	s_waitcnt vmcnt(0)
	v_fma_f64 v[29:30], -v[5:6], v[20:21], v[29:30]
	v_fma_f64 v[31:32], -v[7:8], v[20:21], v[31:32]
	v_fma_f64 v[20:21], v[7:8], v[22:23], v[29:30]
	v_fma_f64 v[22:23], -v[5:6], v[22:23], v[31:32]
	global_store_dwordx4 v[33:34], v[20:23], off
	s_branch .LBB45_18
.LBB45_25:
	s_or_b32 exec_lo, exec_lo, s7
	s_mov_b32 s7, exec_lo
	s_waitcnt_vscnt null, 0x0
	buffer_gl0_inv
	v_cmpx_lt_i32_e32 -1, v18
	s_cbranch_execz .LBB45_47
; %bb.26:
	v_mov_b32_e32 v19, 0
	s_mov_b32 s6, exec_lo
	v_lshlrev_b64 v[5:6], 4, v[18:19]
	v_add_co_u32 v9, vcc_lo, s12, v5
	v_add_co_ci_u32_e64 v10, null, s13, v6, vcc_lo
	global_load_dwordx4 v[5:8], v[9:10], off
	s_waitcnt vmcnt(0)
	v_cmp_gt_f64_e32 vcc_lo, 0, v[5:6]
	v_xor_b32_e32 v12, 0x80000000, v6
	v_xor_b32_e32 v18, 0x80000000, v8
	v_mov_b32_e32 v11, v5
	v_mov_b32_e32 v20, v7
	v_cndmask_b32_e32 v12, v6, v12, vcc_lo
	v_cmp_gt_f64_e32 vcc_lo, 0, v[7:8]
	v_cndmask_b32_e32 v21, v8, v18, vcc_lo
                                        ; implicit-def: $vgpr18_vgpr19
	v_cmpx_ngt_f64_e32 v[11:12], v[20:21]
	s_xor_b32 s6, exec_lo, s6
	s_cbranch_execz .LBB45_30
; %bb.27:
	v_mov_b32_e32 v18, 0
	v_mov_b32_e32 v19, 0
	s_mov_b32 s8, exec_lo
	v_cmpx_neq_f64_e32 0, v[7:8]
	s_cbranch_execz .LBB45_29
; %bb.28:
	v_div_scale_f64 v[18:19], null, v[20:21], v[20:21], v[11:12]
	v_div_scale_f64 v[28:29], vcc_lo, v[11:12], v[20:21], v[11:12]
	v_rcp_f64_e32 v[22:23], v[18:19]
	v_fma_f64 v[26:27], -v[18:19], v[22:23], 1.0
	v_fma_f64 v[22:23], v[22:23], v[26:27], v[22:23]
	v_fma_f64 v[26:27], -v[18:19], v[22:23], 1.0
	v_fma_f64 v[22:23], v[22:23], v[26:27], v[22:23]
	v_mul_f64 v[26:27], v[28:29], v[22:23]
	v_fma_f64 v[18:19], -v[18:19], v[26:27], v[28:29]
	v_div_fmas_f64 v[18:19], v[18:19], v[22:23], v[26:27]
	v_div_fixup_f64 v[11:12], v[18:19], v[20:21], v[11:12]
	v_fma_f64 v[11:12], v[11:12], v[11:12], 1.0
	v_cmp_gt_f64_e32 vcc_lo, 0x10000000, v[11:12]
	v_cndmask_b32_e64 v18, 0, 0x100, vcc_lo
	v_ldexp_f64 v[11:12], v[11:12], v18
	v_rsq_f64_e32 v[18:19], v[11:12]
	v_mul_f64 v[22:23], v[11:12], v[18:19]
	v_mul_f64 v[18:19], v[18:19], 0.5
	v_fma_f64 v[26:27], -v[18:19], v[22:23], 0.5
	v_fma_f64 v[22:23], v[22:23], v[26:27], v[22:23]
	v_fma_f64 v[18:19], v[18:19], v[26:27], v[18:19]
	v_fma_f64 v[26:27], -v[22:23], v[22:23], v[11:12]
	v_fma_f64 v[22:23], v[26:27], v[18:19], v[22:23]
	v_fma_f64 v[26:27], -v[22:23], v[22:23], v[11:12]
	v_fma_f64 v[18:19], v[26:27], v[18:19], v[22:23]
	v_cndmask_b32_e64 v22, 0, 0xffffff80, vcc_lo
	v_cmp_class_f64_e64 vcc_lo, v[11:12], 0x260
	v_ldexp_f64 v[18:19], v[18:19], v22
	v_cndmask_b32_e32 v12, v19, v12, vcc_lo
	v_cndmask_b32_e32 v11, v18, v11, vcc_lo
	v_mul_f64 v[18:19], v[20:21], v[11:12]
.LBB45_29:
	s_or_b32 exec_lo, exec_lo, s8
                                        ; implicit-def: $vgpr11_vgpr12
                                        ; implicit-def: $vgpr20_vgpr21
.LBB45_30:
	s_andn2_saveexec_b32 s6, s6
	s_cbranch_execz .LBB45_32
; %bb.31:
	v_div_scale_f64 v[18:19], null, v[11:12], v[11:12], v[20:21]
	v_div_scale_f64 v[28:29], vcc_lo, v[20:21], v[11:12], v[20:21]
	v_rcp_f64_e32 v[22:23], v[18:19]
	v_fma_f64 v[26:27], -v[18:19], v[22:23], 1.0
	v_fma_f64 v[22:23], v[22:23], v[26:27], v[22:23]
	v_fma_f64 v[26:27], -v[18:19], v[22:23], 1.0
	v_fma_f64 v[22:23], v[22:23], v[26:27], v[22:23]
	v_mul_f64 v[26:27], v[28:29], v[22:23]
	v_fma_f64 v[18:19], -v[18:19], v[26:27], v[28:29]
	v_div_fmas_f64 v[18:19], v[18:19], v[22:23], v[26:27]
	v_div_fixup_f64 v[18:19], v[18:19], v[11:12], v[20:21]
	v_fma_f64 v[18:19], v[18:19], v[18:19], 1.0
	v_cmp_gt_f64_e32 vcc_lo, 0x10000000, v[18:19]
	v_cndmask_b32_e64 v20, 0, 0x100, vcc_lo
	v_ldexp_f64 v[18:19], v[18:19], v20
	v_rsq_f64_e32 v[20:21], v[18:19]
	v_mul_f64 v[22:23], v[18:19], v[20:21]
	v_mul_f64 v[20:21], v[20:21], 0.5
	v_fma_f64 v[26:27], -v[20:21], v[22:23], 0.5
	v_fma_f64 v[22:23], v[22:23], v[26:27], v[22:23]
	v_fma_f64 v[20:21], v[20:21], v[26:27], v[20:21]
	v_fma_f64 v[26:27], -v[22:23], v[22:23], v[18:19]
	v_fma_f64 v[22:23], v[26:27], v[20:21], v[22:23]
	v_fma_f64 v[26:27], -v[22:23], v[22:23], v[18:19]
	v_fma_f64 v[20:21], v[26:27], v[20:21], v[22:23]
	v_cndmask_b32_e64 v22, 0, 0xffffff80, vcc_lo
	v_cmp_class_f64_e64 vcc_lo, v[18:19], 0x260
	v_ldexp_f64 v[20:21], v[20:21], v22
	v_cndmask_b32_e32 v19, v21, v19, vcc_lo
	v_cndmask_b32_e32 v18, v20, v18, vcc_lo
	v_mul_f64 v[18:19], v[11:12], v[18:19]
.LBB45_32:
	s_or_b32 exec_lo, exec_lo, s6
	v_cmp_ne_u32_e32 vcc_lo, 1, v25
	v_cmp_eq_u32_e64 s6, 0, v0
	s_mov_b32 s8, -1
	s_cbranch_vccnz .LBB45_36
; %bb.33:
	v_cvt_f64_f32_e32 v[11:12], v24
	s_cmp_eq_u64 s[24:25], 8
	s_cselect_b32 vcc_lo, -1, 0
	v_cndmask_b32_e32 v12, v12, v16, vcc_lo
	v_cndmask_b32_e32 v11, v11, v15, vcc_lo
	v_cmp_le_f64_e32 vcc_lo, v[18:19], v[11:12]
	s_and_b32 s9, s6, vcc_lo
	s_and_saveexec_b32 s8, s9
	s_cbranch_execz .LBB45_35
; %bb.34:
	global_store_dwordx4 v[9:10], v[1:4], off
.LBB45_35:
	s_or_b32 exec_lo, exec_lo, s8
	s_mov_b32 s8, 0
.LBB45_36:
	s_andn2_b32 vcc_lo, exec_lo, s8
	s_cbranch_vccnz .LBB45_47
; %bb.37:
	s_load_dwordx2 s[4:5], s[4:5], 0x48
	v_add_nc_u32_e32 v1, s34, v17
	s_waitcnt lgkmcnt(0)
	v_cmp_ge_f64_e32 vcc_lo, s[4:5], v[18:19]
	s_and_b32 s5, s6, vcc_lo
	s_and_saveexec_b32 s4, s5
	s_cbranch_execz .LBB45_42
; %bb.38:
	s_mov_b32 s8, exec_lo
	s_brev_b32 s5, -2
.LBB45_39:                              ; =>This Inner Loop Header: Depth=1
	s_ff1_i32_b32 s9, s8
	v_readlane_b32 s10, v1, s9
	s_lshl_b32 s9, 1, s9
	s_andn2_b32 s8, s8, s9
	s_min_i32 s5, s5, s10
	s_cmp_lg_u32 s8, 0
	s_cbranch_scc1 .LBB45_39
; %bb.40:
	v_mbcnt_lo_u32_b32 v2, exec_lo, 0
	s_mov_b32 s8, exec_lo
	v_cmpx_eq_u32_e32 0, v2
	s_xor_b32 s8, exec_lo, s8
	s_cbranch_execz .LBB45_42
; %bb.41:
	v_mov_b32_e32 v2, 0
	v_mov_b32_e32 v3, s5
	global_atomic_smin v2, v3, s[22:23]
.LBB45_42:
	s_or_b32 exec_lo, exec_lo, s4
	v_cmp_eq_f64_e32 vcc_lo, 0, v[5:6]
	v_cmp_eq_f64_e64 s4, 0, v[7:8]
	s_and_b32 s4, vcc_lo, s4
	s_and_b32 s4, s6, s4
	s_and_b32 exec_lo, exec_lo, s4
	s_cbranch_execz .LBB45_47
; %bb.43:
	s_mov_b32 s5, exec_lo
	s_brev_b32 s4, -2
.LBB45_44:                              ; =>This Inner Loop Header: Depth=1
	s_ff1_i32_b32 s6, s5
	v_readlane_b32 s8, v1, s6
	s_lshl_b32 s6, 1, s6
	s_andn2_b32 s5, s5, s6
	s_min_i32 s4, s4, s8
	s_cmp_lg_u32 s5, 0
	s_cbranch_scc1 .LBB45_44
; %bb.45:
	v_mbcnt_lo_u32_b32 v1, exec_lo, 0
	s_mov_b32 s5, exec_lo
	v_cmpx_eq_u32_e32 0, v1
	s_xor_b32 s5, exec_lo, s5
	s_cbranch_execz .LBB45_47
; %bb.46:
	v_mov_b32_e32 v1, 0
	v_mov_b32_e32 v2, s4
	global_atomic_smin v1, v2, s[20:21]
.LBB45_47:
	s_or_b32 exec_lo, exec_lo, s7
	v_cmp_eq_u32_e32 vcc_lo, 0, v0
	s_waitcnt_vscnt null, 0x0
	buffer_gl1_inv
	buffer_gl0_inv
	s_and_b32 exec_lo, exec_lo, vcc_lo
	s_cbranch_execz .LBB45_49
; %bb.48:
	v_add_co_u32 v0, vcc_lo, s16, v13
	v_add_co_ci_u32_e64 v1, null, s17, v14, vcc_lo
	v_mov_b32_e32 v2, 1
	global_store_dword v[0:1], v2, off
.LBB45_49:
	s_endpgm
	.section	.rodata,"a",@progbits
	.p2align	6, 0x0
	.amdhsa_kernel _ZN9rocsparseL17csrilu0_binsearchILj256ELj32ELb0E21rocsparse_complex_numIdEEEviPKiS4_PT2_S4_PiS4_S7_S7_d21rocsparse_index_base_imNS_24const_host_device_scalarIfEENS9_IdEENS9_IS5_EEb
		.amdhsa_group_segment_fixed_size 0
		.amdhsa_private_segment_fixed_size 16
		.amdhsa_kernarg_size 132
		.amdhsa_user_sgpr_count 8
		.amdhsa_user_sgpr_private_segment_buffer 1
		.amdhsa_user_sgpr_dispatch_ptr 0
		.amdhsa_user_sgpr_queue_ptr 0
		.amdhsa_user_sgpr_kernarg_segment_ptr 1
		.amdhsa_user_sgpr_dispatch_id 0
		.amdhsa_user_sgpr_flat_scratch_init 1
		.amdhsa_user_sgpr_private_segment_size 0
		.amdhsa_wavefront_size32 1
		.amdhsa_uses_dynamic_stack 0
		.amdhsa_system_sgpr_private_segment_wavefront_offset 1
		.amdhsa_system_sgpr_workgroup_id_x 1
		.amdhsa_system_sgpr_workgroup_id_y 0
		.amdhsa_system_sgpr_workgroup_id_z 0
		.amdhsa_system_sgpr_workgroup_info 0
		.amdhsa_system_vgpr_workitem_id 0
		.amdhsa_next_free_vgpr 39
		.amdhsa_next_free_sgpr 36
		.amdhsa_reserve_vcc 1
		.amdhsa_reserve_flat_scratch 1
		.amdhsa_float_round_mode_32 0
		.amdhsa_float_round_mode_16_64 0
		.amdhsa_float_denorm_mode_32 3
		.amdhsa_float_denorm_mode_16_64 3
		.amdhsa_dx10_clamp 1
		.amdhsa_ieee_mode 1
		.amdhsa_fp16_overflow 0
		.amdhsa_workgroup_processor_mode 1
		.amdhsa_memory_ordered 1
		.amdhsa_forward_progress 1
		.amdhsa_shared_vgpr_count 0
		.amdhsa_exception_fp_ieee_invalid_op 0
		.amdhsa_exception_fp_denorm_src 0
		.amdhsa_exception_fp_ieee_div_zero 0
		.amdhsa_exception_fp_ieee_overflow 0
		.amdhsa_exception_fp_ieee_underflow 0
		.amdhsa_exception_fp_ieee_inexact 0
		.amdhsa_exception_int_div_zero 0
	.end_amdhsa_kernel
	.section	.text._ZN9rocsparseL17csrilu0_binsearchILj256ELj32ELb0E21rocsparse_complex_numIdEEEviPKiS4_PT2_S4_PiS4_S7_S7_d21rocsparse_index_base_imNS_24const_host_device_scalarIfEENS9_IdEENS9_IS5_EEb,"axG",@progbits,_ZN9rocsparseL17csrilu0_binsearchILj256ELj32ELb0E21rocsparse_complex_numIdEEEviPKiS4_PT2_S4_PiS4_S7_S7_d21rocsparse_index_base_imNS_24const_host_device_scalarIfEENS9_IdEENS9_IS5_EEb,comdat
.Lfunc_end45:
	.size	_ZN9rocsparseL17csrilu0_binsearchILj256ELj32ELb0E21rocsparse_complex_numIdEEEviPKiS4_PT2_S4_PiS4_S7_S7_d21rocsparse_index_base_imNS_24const_host_device_scalarIfEENS9_IdEENS9_IS5_EEb, .Lfunc_end45-_ZN9rocsparseL17csrilu0_binsearchILj256ELj32ELb0E21rocsparse_complex_numIdEEEviPKiS4_PT2_S4_PiS4_S7_S7_d21rocsparse_index_base_imNS_24const_host_device_scalarIfEENS9_IdEENS9_IS5_EEb
                                        ; -- End function
	.set _ZN9rocsparseL17csrilu0_binsearchILj256ELj32ELb0E21rocsparse_complex_numIdEEEviPKiS4_PT2_S4_PiS4_S7_S7_d21rocsparse_index_base_imNS_24const_host_device_scalarIfEENS9_IdEENS9_IS5_EEb.num_vgpr, 39
	.set _ZN9rocsparseL17csrilu0_binsearchILj256ELj32ELb0E21rocsparse_complex_numIdEEEviPKiS4_PT2_S4_PiS4_S7_S7_d21rocsparse_index_base_imNS_24const_host_device_scalarIfEENS9_IdEENS9_IS5_EEb.num_agpr, 0
	.set _ZN9rocsparseL17csrilu0_binsearchILj256ELj32ELb0E21rocsparse_complex_numIdEEEviPKiS4_PT2_S4_PiS4_S7_S7_d21rocsparse_index_base_imNS_24const_host_device_scalarIfEENS9_IdEENS9_IS5_EEb.numbered_sgpr, 36
	.set _ZN9rocsparseL17csrilu0_binsearchILj256ELj32ELb0E21rocsparse_complex_numIdEEEviPKiS4_PT2_S4_PiS4_S7_S7_d21rocsparse_index_base_imNS_24const_host_device_scalarIfEENS9_IdEENS9_IS5_EEb.num_named_barrier, 0
	.set _ZN9rocsparseL17csrilu0_binsearchILj256ELj32ELb0E21rocsparse_complex_numIdEEEviPKiS4_PT2_S4_PiS4_S7_S7_d21rocsparse_index_base_imNS_24const_host_device_scalarIfEENS9_IdEENS9_IS5_EEb.private_seg_size, 16
	.set _ZN9rocsparseL17csrilu0_binsearchILj256ELj32ELb0E21rocsparse_complex_numIdEEEviPKiS4_PT2_S4_PiS4_S7_S7_d21rocsparse_index_base_imNS_24const_host_device_scalarIfEENS9_IdEENS9_IS5_EEb.uses_vcc, 1
	.set _ZN9rocsparseL17csrilu0_binsearchILj256ELj32ELb0E21rocsparse_complex_numIdEEEviPKiS4_PT2_S4_PiS4_S7_S7_d21rocsparse_index_base_imNS_24const_host_device_scalarIfEENS9_IdEENS9_IS5_EEb.uses_flat_scratch, 1
	.set _ZN9rocsparseL17csrilu0_binsearchILj256ELj32ELb0E21rocsparse_complex_numIdEEEviPKiS4_PT2_S4_PiS4_S7_S7_d21rocsparse_index_base_imNS_24const_host_device_scalarIfEENS9_IdEENS9_IS5_EEb.has_dyn_sized_stack, 0
	.set _ZN9rocsparseL17csrilu0_binsearchILj256ELj32ELb0E21rocsparse_complex_numIdEEEviPKiS4_PT2_S4_PiS4_S7_S7_d21rocsparse_index_base_imNS_24const_host_device_scalarIfEENS9_IdEENS9_IS5_EEb.has_recursion, 0
	.set _ZN9rocsparseL17csrilu0_binsearchILj256ELj32ELb0E21rocsparse_complex_numIdEEEviPKiS4_PT2_S4_PiS4_S7_S7_d21rocsparse_index_base_imNS_24const_host_device_scalarIfEENS9_IdEENS9_IS5_EEb.has_indirect_call, 0
	.section	.AMDGPU.csdata,"",@progbits
; Kernel info:
; codeLenInByte = 2464
; TotalNumSgprs: 38
; NumVgprs: 39
; ScratchSize: 16
; MemoryBound: 0
; FloatMode: 240
; IeeeMode: 1
; LDSByteSize: 0 bytes/workgroup (compile time only)
; SGPRBlocks: 0
; VGPRBlocks: 4
; NumSGPRsForWavesPerEU: 38
; NumVGPRsForWavesPerEU: 39
; Occupancy: 16
; WaveLimiterHint : 1
; COMPUTE_PGM_RSRC2:SCRATCH_EN: 1
; COMPUTE_PGM_RSRC2:USER_SGPR: 8
; COMPUTE_PGM_RSRC2:TRAP_HANDLER: 0
; COMPUTE_PGM_RSRC2:TGID_X_EN: 1
; COMPUTE_PGM_RSRC2:TGID_Y_EN: 0
; COMPUTE_PGM_RSRC2:TGID_Z_EN: 0
; COMPUTE_PGM_RSRC2:TIDIG_COMP_CNT: 0
	.section	.text._ZN9rocsparseL12csrilu0_hashILj256ELj64ELj1E21rocsparse_complex_numIdEEEviPKiS4_PT2_S4_PiS4_S7_S7_d21rocsparse_index_base_imNS_24const_host_device_scalarIfEENS9_IdEENS9_IS5_EEb,"axG",@progbits,_ZN9rocsparseL12csrilu0_hashILj256ELj64ELj1E21rocsparse_complex_numIdEEEviPKiS4_PT2_S4_PiS4_S7_S7_d21rocsparse_index_base_imNS_24const_host_device_scalarIfEENS9_IdEENS9_IS5_EEb,comdat
	.globl	_ZN9rocsparseL12csrilu0_hashILj256ELj64ELj1E21rocsparse_complex_numIdEEEviPKiS4_PT2_S4_PiS4_S7_S7_d21rocsparse_index_base_imNS_24const_host_device_scalarIfEENS9_IdEENS9_IS5_EEb ; -- Begin function _ZN9rocsparseL12csrilu0_hashILj256ELj64ELj1E21rocsparse_complex_numIdEEEviPKiS4_PT2_S4_PiS4_S7_S7_d21rocsparse_index_base_imNS_24const_host_device_scalarIfEENS9_IdEENS9_IS5_EEb
	.p2align	8
	.type	_ZN9rocsparseL12csrilu0_hashILj256ELj64ELj1E21rocsparse_complex_numIdEEEviPKiS4_PT2_S4_PiS4_S7_S7_d21rocsparse_index_base_imNS_24const_host_device_scalarIfEENS9_IdEENS9_IS5_EEb,@function
_ZN9rocsparseL12csrilu0_hashILj256ELj64ELj1E21rocsparse_complex_numIdEEEviPKiS4_PT2_S4_PiS4_S7_S7_d21rocsparse_index_base_imNS_24const_host_device_scalarIfEENS9_IdEENS9_IS5_EEb: ; @_ZN9rocsparseL12csrilu0_hashILj256ELj64ELj1E21rocsparse_complex_numIdEEEviPKiS4_PT2_S4_PiS4_S7_S7_d21rocsparse_index_base_imNS_24const_host_device_scalarIfEENS9_IdEENS9_IS5_EEb
; %bb.0:
	s_add_u32 s6, s6, s9
	s_addc_u32 s7, s7, 0
	s_setreg_b32 hwreg(HW_REG_FLAT_SCR_LO), s6
	s_setreg_b32 hwreg(HW_REG_FLAT_SCR_HI), s7
	s_add_u32 s0, s0, s9
	s_clause 0x3
	s_load_dword s9, s[4:5], 0x80
	s_load_dwordx2 s[34:35], s[4:5], 0x50
	s_load_dwordx8 s[24:31], s[4:5], 0x58
	s_load_dwordx2 s[6:7], s[4:5], 0x78
	s_addc_u32 s1, s1, 0
	s_waitcnt lgkmcnt(0)
	s_bitcmp1_b32 s9, 0
	s_cselect_b32 s9, -1, 0
	s_cmp_eq_u32 s35, 0
	v_mov_b32_e32 v1, s31
	s_cselect_b32 s14, -1, 0
	s_cmp_lg_u32 s35, 0
	v_mov_b32_e32 v2, s30
	s_cselect_b32 s12, -1, 0
	s_or_b32 s15, s14, s9
	buffer_store_dword v1, off, s[0:3], 0 offset:4
	s_xor_b32 s13, s15, -1
	s_and_b32 s10, s14, exec_lo
	s_cselect_b32 s11, 0, s29
	s_cselect_b32 s10, 0, s28
	s_and_b32 vcc_lo, exec_lo, s15
	buffer_store_dword v2, off, s[0:3], 0
	s_cbranch_vccnz .LBB46_2
; %bb.1:
	s_load_dword s10, s[26:27], 0x0
	s_waitcnt lgkmcnt(0)
	v_mov_b32_e32 v24, s10
	s_mov_b64 s[10:11], s[28:29]
	v_mov_b32_e32 v16, s11
	v_mov_b32_e32 v15, s10
	s_andn2_b32 vcc_lo, exec_lo, s13
	s_cbranch_vccz .LBB46_3
	s_branch .LBB46_4
.LBB46_2:
	v_cndmask_b32_e64 v24, s26, 0, s14
	v_mov_b32_e32 v16, s11
	v_mov_b32_e32 v15, s10
	s_andn2_b32 vcc_lo, exec_lo, s13
	s_cbranch_vccnz .LBB46_4
.LBB46_3:
	v_mov_b32_e32 v1, s28
	v_mov_b32_e32 v2, s29
	flat_load_dwordx2 v[15:16], v[1:2]
.LBB46_4:
	v_mov_b32_e32 v3, 0
	v_mov_b32_e32 v1, 0
	v_cndmask_b32_e64 v25, 0, 1, s12
	v_mov_b32_e32 v4, 0
	v_mov_b32_e32 v2, 0
	s_andn2_b32 vcc_lo, exec_lo, s12
	s_cbranch_vccnz .LBB46_7
; %bb.5:
	s_mov_b64 s[10:11], src_private_base
	s_xor_b32 s10, s9, -1
	s_and_b32 s9, s9, exec_lo
	s_cselect_b32 s9, 0, s30
	s_cselect_b32 s11, s11, s31
	v_mov_b32_e32 v1, s9
	v_mov_b32_e32 v2, s11
	;; [unrolled: 1-line block ×4, first 2 shown]
	s_andn2_b32 vcc_lo, exec_lo, s10
	flat_load_dwordx2 v[1:2], v[1:2]
	s_cbranch_vccnz .LBB46_7
; %bb.6:
	v_mov_b32_e32 v3, s30
	v_mov_b32_e32 v4, s31
	flat_load_dwordx2 v[3:4], v[3:4] offset:8
.LBB46_7:
	s_load_dword s6, s[4:5], 0x0
	v_and_b32_e32 v6, 0xc0, v0
	v_lshrrev_b32_e32 v5, 6, v0
	s_lshl_b32 s7, s8, 2
	v_and_b32_e32 v0, 63, v0
	v_mov_b32_e32 v8, -1
	v_lshl_or_b32 v26, v6, 2, 0x400
	v_and_or_b32 v5, 0x3fffffc, s7, v5
	v_lshl_or_b32 v7, v0, 2, v26
	ds_write_b32 v7, v8
	s_waitcnt vmcnt(0) lgkmcnt(0)
	s_waitcnt_vscnt null, 0x0
	buffer_gl0_inv
	v_cmp_gt_i32_e32 vcc_lo, s6, v5
	s_and_saveexec_b32 s6, vcc_lo
	s_cbranch_execz .LBB46_85
; %bb.8:
	s_load_dwordx16 s[8:23], s[4:5], 0x8
	v_lshlrev_b32_e32 v5, 2, v5
	v_lshlrev_b32_e32 v27, 2, v6
	s_mov_b32 s6, exec_lo
	s_waitcnt lgkmcnt(0)
	global_load_dword v17, v5, s[18:19]
	s_waitcnt vmcnt(0)
	v_ashrrev_i32_e32 v18, 31, v17
	v_lshlrev_b64 v[13:14], 2, v[17:18]
	v_add_co_u32 v7, vcc_lo, s8, v13
	v_add_co_ci_u32_e64 v8, null, s9, v14, vcc_lo
	v_add_co_u32 v9, vcc_lo, s14, v13
	v_add_co_ci_u32_e64 v10, null, s15, v14, vcc_lo
	global_load_dwordx2 v[7:8], v[7:8], off
	global_load_dword v18, v[9:10], off
	s_waitcnt vmcnt(1)
	v_subrev_nc_u32_e32 v19, s34, v7
	v_subrev_nc_u32_e32 v7, s34, v8
	v_add_nc_u32_e32 v5, v19, v0
	v_cmpx_lt_i32_e64 v5, v7
	s_cbranch_execz .LBB46_31
; %bb.9:
	v_mov_b32_e32 v8, -1
	s_mov_b32 s7, 0
	s_branch .LBB46_11
.LBB46_10:                              ;   in Loop: Header=BB46_11 Depth=1
	s_or_b32 exec_lo, exec_lo, s18
	v_add_nc_u32_e32 v5, 64, v5
	v_cmp_ge_i32_e32 vcc_lo, v5, v7
	s_or_b32 s7, vcc_lo, s7
	s_andn2_b32 exec_lo, exec_lo, s7
	s_cbranch_execz .LBB46_31
.LBB46_11:                              ; =>This Loop Header: Depth=1
                                        ;     Child Loop BB46_20 Depth 2
	v_ashrrev_i32_e32 v6, 31, v5
	s_mov_b32 s18, 0
                                        ; implicit-def: $sgpr19
                                        ; implicit-def: $sgpr26
                                        ; implicit-def: $sgpr27
	v_lshlrev_b64 v[9:10], 2, v[5:6]
	v_add_co_u32 v9, vcc_lo, s10, v9
	v_add_co_ci_u32_e64 v10, null, s11, v10, vcc_lo
	global_load_dword v6, v[9:10], off
	v_mov_b32_e32 v9, 64
	s_waitcnt vmcnt(0)
	v_mul_lo_u32 v11, v6, 39
	s_branch .LBB46_20
.LBB46_12:                              ;   in Loop: Header=BB46_20 Depth=2
	s_or_b32 exec_lo, exec_lo, s39
	s_orn2_b32 s37, s37, exec_lo
	s_orn2_b32 s38, s38, exec_lo
.LBB46_13:                              ;   in Loop: Header=BB46_20 Depth=2
	s_or_b32 exec_lo, exec_lo, s36
	s_and_b32 s37, s37, exec_lo
	s_orn2_b32 s36, s38, exec_lo
.LBB46_14:                              ;   in Loop: Header=BB46_20 Depth=2
	s_or_b32 exec_lo, exec_lo, s35
	s_orn2_b32 s35, s37, exec_lo
	s_orn2_b32 s36, s36, exec_lo
.LBB46_15:                              ;   in Loop: Header=BB46_20 Depth=2
	s_or_b32 exec_lo, exec_lo, s33
	s_and_b32 s35, s35, exec_lo
	s_orn2_b32 s33, s36, exec_lo
.LBB46_16:                              ;   in Loop: Header=BB46_20 Depth=2
	s_or_b32 exec_lo, exec_lo, s31
	s_orn2_b32 s31, s35, exec_lo
	s_orn2_b32 s33, s33, exec_lo
.LBB46_17:                              ;   in Loop: Header=BB46_20 Depth=2
	s_or_b32 exec_lo, exec_lo, s30
	s_and_b32 s31, s31, exec_lo
	s_orn2_b32 s30, s33, exec_lo
.LBB46_18:                              ;   in Loop: Header=BB46_20 Depth=2
	s_or_b32 exec_lo, exec_lo, s29
	s_andn2_b32 s27, s27, exec_lo
	s_and_b32 s29, s31, exec_lo
	s_andn2_b32 s26, s26, exec_lo
	s_and_b32 s30, s30, exec_lo
	s_or_b32 s27, s27, s29
	s_or_b32 s26, s26, s30
.LBB46_19:                              ;   in Loop: Header=BB46_20 Depth=2
	s_or_b32 exec_lo, exec_lo, s28
	s_and_b32 s28, exec_lo, s26
	s_or_b32 s18, s28, s18
	s_andn2_b32 s19, s19, exec_lo
	s_and_b32 s28, s27, exec_lo
	s_or_b32 s19, s19, s28
	s_andn2_b32 exec_lo, exec_lo, s18
	s_cbranch_execz .LBB46_29
.LBB46_20:                              ;   Parent Loop BB46_11 Depth=1
                                        ; =>  This Inner Loop Header: Depth=2
	v_and_b32_e32 v10, 63, v11
	s_or_b32 s27, s27, exec_lo
	s_or_b32 s26, s26, exec_lo
	s_mov_b32 s28, exec_lo
	v_lshl_add_u32 v12, v10, 2, v26
	ds_read_b32 v20, v12
	s_waitcnt lgkmcnt(0)
	v_cmpx_ne_u32_e64 v20, v6
	s_cbranch_execz .LBB46_19
; %bb.21:                               ;   in Loop: Header=BB46_20 Depth=2
	ds_cmpst_rtn_b32 v12, v12, v8, v6
	s_mov_b32 s30, -1
	s_mov_b32 s31, 0
	s_mov_b32 s29, exec_lo
	s_waitcnt lgkmcnt(0)
	v_cmpx_ne_u32_e32 -1, v12
	s_cbranch_execz .LBB46_18
; %bb.22:                               ;   in Loop: Header=BB46_20 Depth=2
	v_add_nc_u32_e32 v10, 1, v11
	s_mov_b32 s33, -1
	s_mov_b32 s31, -1
	s_mov_b32 s30, exec_lo
	v_and_b32_e32 v10, 63, v10
	v_lshl_add_u32 v12, v10, 2, v26
	ds_read_b32 v20, v12
	s_waitcnt lgkmcnt(0)
	v_cmpx_ne_u32_e64 v20, v6
	s_cbranch_execz .LBB46_17
; %bb.23:                               ;   in Loop: Header=BB46_20 Depth=2
	ds_cmpst_rtn_b32 v12, v12, v8, v6
	s_mov_b32 s35, 0
	s_mov_b32 s31, exec_lo
	s_waitcnt lgkmcnt(0)
	v_cmpx_ne_u32_e32 -1, v12
	s_cbranch_execz .LBB46_16
; %bb.24:                               ;   in Loop: Header=BB46_20 Depth=2
	v_add_nc_u32_e32 v10, 2, v11
	s_mov_b32 s36, -1
	s_mov_b32 s35, -1
	s_mov_b32 s33, exec_lo
	v_and_b32_e32 v10, 63, v10
	v_lshl_add_u32 v12, v10, 2, v26
	ds_read_b32 v20, v12
	s_waitcnt lgkmcnt(0)
	v_cmpx_ne_u32_e64 v20, v6
	s_cbranch_execz .LBB46_15
; %bb.25:                               ;   in Loop: Header=BB46_20 Depth=2
	ds_cmpst_rtn_b32 v12, v12, v8, v6
	s_mov_b32 s37, 0
	s_mov_b32 s35, exec_lo
	s_waitcnt lgkmcnt(0)
	v_cmpx_ne_u32_e32 -1, v12
	s_cbranch_execz .LBB46_14
; %bb.26:                               ;   in Loop: Header=BB46_20 Depth=2
	v_add_nc_u32_e32 v10, 3, v11
	s_mov_b32 s38, -1
	s_mov_b32 s37, -1
	v_and_b32_e32 v10, 63, v10
	v_lshl_add_u32 v12, v10, 2, v26
	ds_read_b32 v11, v12
	s_waitcnt lgkmcnt(0)
	v_cmp_ne_u32_e32 vcc_lo, v11, v6
                                        ; implicit-def: $vgpr11
	s_and_saveexec_b32 s36, vcc_lo
	s_cbranch_execz .LBB46_13
; %bb.27:                               ;   in Loop: Header=BB46_20 Depth=2
	ds_cmpst_rtn_b32 v11, v12, v8, v6
	s_mov_b32 s37, 0
	s_waitcnt lgkmcnt(0)
	v_cmp_ne_u32_e32 vcc_lo, -1, v11
                                        ; implicit-def: $vgpr11
	s_and_saveexec_b32 s39, vcc_lo
	s_cbranch_execz .LBB46_12
; %bb.28:                               ;   in Loop: Header=BB46_20 Depth=2
	v_add_nc_u32_e32 v9, -4, v9
	v_add_nc_u32_e32 v11, 1, v10
	s_mov_b32 s37, exec_lo
	v_cmp_eq_u32_e32 vcc_lo, 0, v9
	s_orn2_b32 s38, vcc_lo, exec_lo
	s_branch .LBB46_12
.LBB46_29:                              ;   in Loop: Header=BB46_11 Depth=1
	s_or_b32 exec_lo, exec_lo, s18
	s_xor_b32 s18, s19, -1
	s_and_saveexec_b32 s19, s18
	s_xor_b32 s18, exec_lo, s19
	s_cbranch_execz .LBB46_10
; %bb.30:                               ;   in Loop: Header=BB46_11 Depth=1
	v_lshl_add_u32 v6, v10, 2, v27
	ds_write_b32 v6, v5
	s_branch .LBB46_10
.LBB46_31:
	s_or_b32 exec_lo, exec_lo, s6
	s_mov_b32 s7, exec_lo
	s_waitcnt vmcnt(0) lgkmcnt(0)
	buffer_gl0_inv
	v_cmpx_lt_i32_e64 v19, v18
	s_cbranch_execz .LBB46_61
; %bb.32:
	v_add_nc_u32_e32 v28, 1, v0
	s_mov_b32 s18, 0
	s_branch .LBB46_35
.LBB46_33:                              ;   in Loop: Header=BB46_35 Depth=1
	s_or_b32 exec_lo, exec_lo, s19
	v_add_nc_u32_e32 v19, 1, v19
	v_cmp_ge_i32_e32 vcc_lo, v19, v18
	s_orn2_b32 s19, vcc_lo, exec_lo
.LBB46_34:                              ;   in Loop: Header=BB46_35 Depth=1
	s_or_b32 exec_lo, exec_lo, s6
	s_and_b32 s6, exec_lo, s19
	s_or_b32 s18, s6, s18
	s_andn2_b32 exec_lo, exec_lo, s18
	s_cbranch_execz .LBB46_61
.LBB46_35:                              ; =>This Loop Header: Depth=1
                                        ;     Child Loop BB46_36 Depth 2
                                        ;     Child Loop BB46_41 Depth 2
                                        ;       Child Loop BB46_50 Depth 3
	v_ashrrev_i32_e32 v20, 31, v19
	s_mov_b32 s6, 0
	v_lshlrev_b64 v[5:6], 2, v[19:20]
	v_lshlrev_b64 v[7:8], 4, v[19:20]
	v_add_co_u32 v5, vcc_lo, s10, v5
	v_add_co_ci_u32_e64 v6, null, s11, v6, vcc_lo
	v_add_co_u32 v20, vcc_lo, s12, v7
	v_add_co_ci_u32_e64 v21, null, s13, v8, vcc_lo
	global_load_dword v5, v[5:6], off
	s_waitcnt vmcnt(0)
	v_subrev_nc_u32_e32 v5, s34, v5
	v_ashrrev_i32_e32 v6, 31, v5
	v_lshlrev_b64 v[9:10], 2, v[5:6]
	v_add_co_u32 v11, vcc_lo, s8, v9
	v_add_co_ci_u32_e64 v12, null, s9, v10, vcc_lo
	v_add_co_u32 v22, vcc_lo, s14, v9
	v_add_co_ci_u32_e64 v23, null, s15, v10, vcc_lo
	global_load_dwordx4 v[5:8], v[20:21], off
	global_load_dword v11, v[11:12], off offset:4
	global_load_dword v12, v[22:23], off
	v_add_co_u32 v9, vcc_lo, s16, v9
	v_add_co_ci_u32_e64 v10, null, s17, v10, vcc_lo
.LBB46_36:                              ;   Parent Loop BB46_35 Depth=1
                                        ; =>  This Inner Loop Header: Depth=2
	global_load_dword v22, v[9:10], off glc dlc
	s_waitcnt vmcnt(0)
	v_cmp_ne_u32_e32 vcc_lo, 0, v22
	s_or_b32 s6, vcc_lo, s6
	s_andn2_b32 exec_lo, exec_lo, s6
	s_cbranch_execnz .LBB46_36
; %bb.37:                               ;   in Loop: Header=BB46_35 Depth=1
	s_or_b32 exec_lo, exec_lo, s6
	v_subrev_nc_u32_e32 v29, s34, v11
	v_cmp_eq_u32_e32 vcc_lo, -1, v12
	buffer_gl1_inv
	buffer_gl0_inv
	s_mov_b32 s19, -1
	v_add_nc_u32_e32 v9, -1, v29
	v_cndmask_b32_e32 v22, v12, v9, vcc_lo
	v_ashrrev_i32_e32 v23, 31, v22
	v_lshlrev_b64 v[9:10], 4, v[22:23]
	v_add_co_u32 v9, vcc_lo, s12, v9
	v_add_co_ci_u32_e64 v10, null, s13, v10, vcc_lo
	global_load_dwordx4 v[9:12], v[9:10], off
	s_waitcnt vmcnt(0)
	v_cmp_neq_f64_e32 vcc_lo, 0, v[9:10]
	v_cmp_neq_f64_e64 s6, 0, v[11:12]
	s_or_b32 s26, vcc_lo, s6
	s_and_saveexec_b32 s6, s26
	s_cbranch_execz .LBB46_34
; %bb.38:                               ;   in Loop: Header=BB46_35 Depth=1
	v_mul_f64 v[30:31], v[11:12], v[11:12]
	s_mov_b32 s19, exec_lo
	v_fma_f64 v[30:31], v[9:10], v[9:10], v[30:31]
	v_div_scale_f64 v[32:33], null, v[30:31], v[30:31], 1.0
	v_div_scale_f64 v[38:39], vcc_lo, 1.0, v[30:31], 1.0
	v_rcp_f64_e32 v[34:35], v[32:33]
	v_fma_f64 v[36:37], -v[32:33], v[34:35], 1.0
	v_fma_f64 v[34:35], v[34:35], v[36:37], v[34:35]
	v_fma_f64 v[36:37], -v[32:33], v[34:35], 1.0
	v_fma_f64 v[34:35], v[34:35], v[36:37], v[34:35]
	v_mul_f64 v[36:37], v[38:39], v[34:35]
	v_fma_f64 v[32:33], -v[32:33], v[36:37], v[38:39]
	v_mul_f64 v[38:39], v[7:8], v[11:12]
	v_mul_f64 v[11:12], v[11:12], -v[5:6]
	v_div_fmas_f64 v[32:33], v[32:33], v[34:35], v[36:37]
	v_fma_f64 v[5:6], v[5:6], v[9:10], v[38:39]
	v_fma_f64 v[7:8], v[7:8], v[9:10], v[11:12]
	v_add_nc_u32_e32 v9, v28, v22
	v_div_fixup_f64 v[30:31], v[32:33], v[30:31], 1.0
	v_mul_f64 v[5:6], v[5:6], v[30:31]
	v_mul_f64 v[7:8], v[7:8], v[30:31]
	global_store_dwordx4 v[20:21], v[5:8], off
	v_cmpx_lt_i32_e64 v9, v29
	s_cbranch_execz .LBB46_33
; %bb.39:                               ;   in Loop: Header=BB46_35 Depth=1
	s_mov_b32 s26, 0
	s_branch .LBB46_41
.LBB46_40:                              ;   in Loop: Header=BB46_41 Depth=2
	s_or_b32 exec_lo, exec_lo, s27
	v_add_nc_u32_e32 v9, 64, v9
	v_cmp_ge_i32_e32 vcc_lo, v9, v29
	s_or_b32 s26, vcc_lo, s26
	s_andn2_b32 exec_lo, exec_lo, s26
	s_cbranch_execz .LBB46_33
.LBB46_41:                              ;   Parent Loop BB46_35 Depth=1
                                        ; =>  This Loop Header: Depth=2
                                        ;       Child Loop BB46_50 Depth 3
	v_ashrrev_i32_e32 v10, 31, v9
	s_mov_b32 s27, 0
                                        ; implicit-def: $sgpr28
                                        ; implicit-def: $sgpr29
                                        ; implicit-def: $sgpr30
	v_lshlrev_b64 v[11:12], 2, v[9:10]
	v_add_co_u32 v11, vcc_lo, s10, v11
	v_add_co_ci_u32_e64 v12, null, s11, v12, vcc_lo
	global_load_dword v11, v[11:12], off
	v_mov_b32_e32 v12, 64
	s_waitcnt vmcnt(0)
	v_mul_lo_u32 v21, v11, 39
	s_branch .LBB46_50
.LBB46_42:                              ;   in Loop: Header=BB46_50 Depth=3
	s_or_b32 exec_lo, exec_lo, s42
	s_orn2_b32 s40, s40, exec_lo
	s_orn2_b32 s41, s41, exec_lo
.LBB46_43:                              ;   in Loop: Header=BB46_50 Depth=3
	s_or_b32 exec_lo, exec_lo, s39
	s_and_b32 s40, s40, exec_lo
	s_orn2_b32 s39, s41, exec_lo
.LBB46_44:                              ;   in Loop: Header=BB46_50 Depth=3
	s_or_b32 exec_lo, exec_lo, s38
	s_orn2_b32 s38, s40, exec_lo
	s_orn2_b32 s39, s39, exec_lo
.LBB46_45:                              ;   in Loop: Header=BB46_50 Depth=3
	s_or_b32 exec_lo, exec_lo, s37
	s_and_b32 s38, s38, exec_lo
	s_orn2_b32 s37, s39, exec_lo
.LBB46_46:                              ;   in Loop: Header=BB46_50 Depth=3
	s_or_b32 exec_lo, exec_lo, s36
	s_orn2_b32 s36, s38, exec_lo
	s_orn2_b32 s37, s37, exec_lo
.LBB46_47:                              ;   in Loop: Header=BB46_50 Depth=3
	s_or_b32 exec_lo, exec_lo, s35
	s_and_b32 s36, s36, exec_lo
	s_orn2_b32 s35, s37, exec_lo
.LBB46_48:                              ;   in Loop: Header=BB46_50 Depth=3
	s_or_b32 exec_lo, exec_lo, s33
	s_andn2_b32 s30, s30, exec_lo
	s_and_b32 s33, s36, exec_lo
	s_andn2_b32 s29, s29, exec_lo
	s_and_b32 s35, s35, exec_lo
	s_or_b32 s30, s30, s33
	s_or_b32 s29, s29, s35
.LBB46_49:                              ;   in Loop: Header=BB46_50 Depth=3
	s_or_b32 exec_lo, exec_lo, s31
	s_and_b32 s31, exec_lo, s29
	s_or_b32 s27, s31, s27
	s_andn2_b32 s28, s28, exec_lo
	s_and_b32 s31, s30, exec_lo
	s_or_b32 s28, s28, s31
	s_andn2_b32 exec_lo, exec_lo, s27
	s_cbranch_execz .LBB46_59
.LBB46_50:                              ;   Parent Loop BB46_35 Depth=1
                                        ;     Parent Loop BB46_41 Depth=2
                                        ; =>    This Inner Loop Header: Depth=3
	v_and_b32_e32 v20, 63, v21
	s_or_b32 s30, s30, exec_lo
	s_or_b32 s29, s29, exec_lo
	s_mov_b32 s31, exec_lo
	v_lshl_add_u32 v22, v20, 2, v26
	ds_read_b32 v22, v22
	s_waitcnt lgkmcnt(0)
	v_cmpx_ne_u32_e32 -1, v22
	s_cbranch_execz .LBB46_49
; %bb.51:                               ;   in Loop: Header=BB46_50 Depth=3
	s_mov_b32 s35, -1
	s_mov_b32 s36, 0
	s_mov_b32 s33, exec_lo
	v_cmpx_ne_u32_e64 v22, v11
	s_cbranch_execz .LBB46_48
; %bb.52:                               ;   in Loop: Header=BB46_50 Depth=3
	v_add_nc_u32_e32 v20, 1, v21
	s_mov_b32 s37, -1
	s_mov_b32 s36, -1
	s_mov_b32 s35, exec_lo
	v_and_b32_e32 v20, 63, v20
	v_lshl_add_u32 v22, v20, 2, v26
	ds_read_b32 v22, v22
	s_waitcnt lgkmcnt(0)
	v_cmpx_ne_u32_e32 -1, v22
	s_cbranch_execz .LBB46_47
; %bb.53:                               ;   in Loop: Header=BB46_50 Depth=3
	s_mov_b32 s38, 0
	s_mov_b32 s36, exec_lo
	v_cmpx_ne_u32_e64 v22, v11
	s_cbranch_execz .LBB46_46
; %bb.54:                               ;   in Loop: Header=BB46_50 Depth=3
	v_add_nc_u32_e32 v20, 2, v21
	s_mov_b32 s39, -1
	s_mov_b32 s38, -1
	s_mov_b32 s37, exec_lo
	v_and_b32_e32 v20, 63, v20
	v_lshl_add_u32 v22, v20, 2, v26
	ds_read_b32 v22, v22
	s_waitcnt lgkmcnt(0)
	v_cmpx_ne_u32_e32 -1, v22
	s_cbranch_execz .LBB46_45
; %bb.55:                               ;   in Loop: Header=BB46_50 Depth=3
	s_mov_b32 s40, 0
	s_mov_b32 s38, exec_lo
	v_cmpx_ne_u32_e64 v22, v11
	s_cbranch_execz .LBB46_44
; %bb.56:                               ;   in Loop: Header=BB46_50 Depth=3
	v_add_nc_u32_e32 v20, 3, v21
	s_mov_b32 s41, -1
	s_mov_b32 s40, -1
	s_mov_b32 s39, exec_lo
	v_and_b32_e32 v20, 63, v20
	v_lshl_add_u32 v21, v20, 2, v26
	ds_read_b32 v22, v21
                                        ; implicit-def: $vgpr21
	s_waitcnt lgkmcnt(0)
	v_cmpx_ne_u32_e32 -1, v22
	s_cbranch_execz .LBB46_43
; %bb.57:                               ;   in Loop: Header=BB46_50 Depth=3
	s_mov_b32 s40, 0
	s_mov_b32 s42, exec_lo
                                        ; implicit-def: $vgpr21
	v_cmpx_ne_u32_e64 v22, v11
	s_cbranch_execz .LBB46_42
; %bb.58:                               ;   in Loop: Header=BB46_50 Depth=3
	v_add_nc_u32_e32 v12, -4, v12
	v_add_nc_u32_e32 v21, 1, v20
	s_mov_b32 s40, exec_lo
	v_cmp_eq_u32_e32 vcc_lo, 0, v12
	s_orn2_b32 s41, vcc_lo, exec_lo
	s_branch .LBB46_42
.LBB46_59:                              ;   in Loop: Header=BB46_41 Depth=2
	s_or_b32 exec_lo, exec_lo, s27
	s_xor_b32 s27, s28, -1
	s_and_saveexec_b32 s28, s27
	s_xor_b32 s27, exec_lo, s28
	s_cbranch_execz .LBB46_40
; %bb.60:                               ;   in Loop: Header=BB46_41 Depth=2
	v_lshl_add_u32 v11, v20, 2, v27
	v_lshlrev_b64 v[20:21], 4, v[9:10]
	ds_read_b32 v11, v11
	v_add_co_u32 v20, vcc_lo, s12, v20
	v_add_co_ci_u32_e64 v21, null, s13, v21, vcc_lo
	s_waitcnt lgkmcnt(0)
	v_ashrrev_i32_e32 v12, 31, v11
	v_lshlrev_b64 v[10:11], 4, v[11:12]
	v_add_co_u32 v10, vcc_lo, s12, v10
	v_add_co_ci_u32_e64 v11, null, s13, v11, vcc_lo
	s_clause 0x1
	global_load_dwordx4 v[20:23], v[20:21], off
	global_load_dwordx4 v[30:33], v[10:11], off
	s_waitcnt vmcnt(0)
	v_fma_f64 v[30:31], -v[5:6], v[20:21], v[30:31]
	v_fma_f64 v[32:33], -v[7:8], v[20:21], v[32:33]
	v_fma_f64 v[20:21], v[7:8], v[22:23], v[30:31]
	v_fma_f64 v[22:23], -v[5:6], v[22:23], v[32:33]
	global_store_dwordx4 v[10:11], v[20:23], off
	s_branch .LBB46_40
.LBB46_61:
	s_or_b32 exec_lo, exec_lo, s7
	s_mov_b32 s7, exec_lo
	s_waitcnt_vscnt null, 0x0
	buffer_gl0_inv
	v_cmpx_lt_i32_e32 -1, v18
	s_cbranch_execz .LBB46_83
; %bb.62:
	v_mov_b32_e32 v19, 0
	s_mov_b32 s6, exec_lo
	v_lshlrev_b64 v[5:6], 4, v[18:19]
	v_add_co_u32 v9, vcc_lo, s12, v5
	v_add_co_ci_u32_e64 v10, null, s13, v6, vcc_lo
	global_load_dwordx4 v[5:8], v[9:10], off
	s_waitcnt vmcnt(0)
	v_cmp_gt_f64_e32 vcc_lo, 0, v[5:6]
	v_xor_b32_e32 v12, 0x80000000, v6
	v_xor_b32_e32 v18, 0x80000000, v8
	v_mov_b32_e32 v11, v5
	v_mov_b32_e32 v20, v7
	v_cndmask_b32_e32 v12, v6, v12, vcc_lo
	v_cmp_gt_f64_e32 vcc_lo, 0, v[7:8]
	v_cndmask_b32_e32 v21, v8, v18, vcc_lo
                                        ; implicit-def: $vgpr18_vgpr19
	v_cmpx_ngt_f64_e32 v[11:12], v[20:21]
	s_xor_b32 s6, exec_lo, s6
	s_cbranch_execz .LBB46_66
; %bb.63:
	v_mov_b32_e32 v18, 0
	v_mov_b32_e32 v19, 0
	s_mov_b32 s8, exec_lo
	v_cmpx_neq_f64_e32 0, v[7:8]
	s_cbranch_execz .LBB46_65
; %bb.64:
	v_div_scale_f64 v[18:19], null, v[20:21], v[20:21], v[11:12]
	v_div_scale_f64 v[28:29], vcc_lo, v[11:12], v[20:21], v[11:12]
	v_rcp_f64_e32 v[22:23], v[18:19]
	v_fma_f64 v[26:27], -v[18:19], v[22:23], 1.0
	v_fma_f64 v[22:23], v[22:23], v[26:27], v[22:23]
	v_fma_f64 v[26:27], -v[18:19], v[22:23], 1.0
	v_fma_f64 v[22:23], v[22:23], v[26:27], v[22:23]
	v_mul_f64 v[26:27], v[28:29], v[22:23]
	v_fma_f64 v[18:19], -v[18:19], v[26:27], v[28:29]
	v_div_fmas_f64 v[18:19], v[18:19], v[22:23], v[26:27]
	v_div_fixup_f64 v[11:12], v[18:19], v[20:21], v[11:12]
	v_fma_f64 v[11:12], v[11:12], v[11:12], 1.0
	v_cmp_gt_f64_e32 vcc_lo, 0x10000000, v[11:12]
	v_cndmask_b32_e64 v18, 0, 0x100, vcc_lo
	v_ldexp_f64 v[11:12], v[11:12], v18
	v_rsq_f64_e32 v[18:19], v[11:12]
	v_mul_f64 v[22:23], v[11:12], v[18:19]
	v_mul_f64 v[18:19], v[18:19], 0.5
	v_fma_f64 v[26:27], -v[18:19], v[22:23], 0.5
	v_fma_f64 v[22:23], v[22:23], v[26:27], v[22:23]
	v_fma_f64 v[18:19], v[18:19], v[26:27], v[18:19]
	v_fma_f64 v[26:27], -v[22:23], v[22:23], v[11:12]
	v_fma_f64 v[22:23], v[26:27], v[18:19], v[22:23]
	v_fma_f64 v[26:27], -v[22:23], v[22:23], v[11:12]
	v_fma_f64 v[18:19], v[26:27], v[18:19], v[22:23]
	v_cndmask_b32_e64 v22, 0, 0xffffff80, vcc_lo
	v_cmp_class_f64_e64 vcc_lo, v[11:12], 0x260
	v_ldexp_f64 v[18:19], v[18:19], v22
	v_cndmask_b32_e32 v12, v19, v12, vcc_lo
	v_cndmask_b32_e32 v11, v18, v11, vcc_lo
	v_mul_f64 v[18:19], v[20:21], v[11:12]
.LBB46_65:
	s_or_b32 exec_lo, exec_lo, s8
                                        ; implicit-def: $vgpr11_vgpr12
                                        ; implicit-def: $vgpr20_vgpr21
.LBB46_66:
	s_andn2_saveexec_b32 s6, s6
	s_cbranch_execz .LBB46_68
; %bb.67:
	v_div_scale_f64 v[18:19], null, v[11:12], v[11:12], v[20:21]
	v_div_scale_f64 v[28:29], vcc_lo, v[20:21], v[11:12], v[20:21]
	v_rcp_f64_e32 v[22:23], v[18:19]
	v_fma_f64 v[26:27], -v[18:19], v[22:23], 1.0
	v_fma_f64 v[22:23], v[22:23], v[26:27], v[22:23]
	v_fma_f64 v[26:27], -v[18:19], v[22:23], 1.0
	v_fma_f64 v[22:23], v[22:23], v[26:27], v[22:23]
	v_mul_f64 v[26:27], v[28:29], v[22:23]
	v_fma_f64 v[18:19], -v[18:19], v[26:27], v[28:29]
	v_div_fmas_f64 v[18:19], v[18:19], v[22:23], v[26:27]
	v_div_fixup_f64 v[18:19], v[18:19], v[11:12], v[20:21]
	v_fma_f64 v[18:19], v[18:19], v[18:19], 1.0
	v_cmp_gt_f64_e32 vcc_lo, 0x10000000, v[18:19]
	v_cndmask_b32_e64 v20, 0, 0x100, vcc_lo
	v_ldexp_f64 v[18:19], v[18:19], v20
	v_rsq_f64_e32 v[20:21], v[18:19]
	v_mul_f64 v[22:23], v[18:19], v[20:21]
	v_mul_f64 v[20:21], v[20:21], 0.5
	v_fma_f64 v[26:27], -v[20:21], v[22:23], 0.5
	v_fma_f64 v[22:23], v[22:23], v[26:27], v[22:23]
	v_fma_f64 v[20:21], v[20:21], v[26:27], v[20:21]
	v_fma_f64 v[26:27], -v[22:23], v[22:23], v[18:19]
	v_fma_f64 v[22:23], v[26:27], v[20:21], v[22:23]
	v_fma_f64 v[26:27], -v[22:23], v[22:23], v[18:19]
	v_fma_f64 v[20:21], v[26:27], v[20:21], v[22:23]
	v_cndmask_b32_e64 v22, 0, 0xffffff80, vcc_lo
	v_cmp_class_f64_e64 vcc_lo, v[18:19], 0x260
	v_ldexp_f64 v[20:21], v[20:21], v22
	v_cndmask_b32_e32 v19, v21, v19, vcc_lo
	v_cndmask_b32_e32 v18, v20, v18, vcc_lo
	v_mul_f64 v[18:19], v[11:12], v[18:19]
.LBB46_68:
	s_or_b32 exec_lo, exec_lo, s6
	v_cmp_ne_u32_e32 vcc_lo, 1, v25
	v_cmp_eq_u32_e64 s6, 0, v0
	s_mov_b32 s8, -1
	s_cbranch_vccnz .LBB46_72
; %bb.69:
	v_cvt_f64_f32_e32 v[11:12], v24
	s_cmp_eq_u64 s[24:25], 8
	s_cselect_b32 vcc_lo, -1, 0
	v_cndmask_b32_e32 v12, v12, v16, vcc_lo
	v_cndmask_b32_e32 v11, v11, v15, vcc_lo
	v_cmp_le_f64_e32 vcc_lo, v[18:19], v[11:12]
	s_and_b32 s9, s6, vcc_lo
	s_and_saveexec_b32 s8, s9
	s_cbranch_execz .LBB46_71
; %bb.70:
	global_store_dwordx4 v[9:10], v[1:4], off
	s_waitcnt_vscnt null, 0x0
	buffer_gl1_inv
	buffer_gl0_inv
.LBB46_71:
	s_or_b32 exec_lo, exec_lo, s8
	s_mov_b32 s8, 0
.LBB46_72:
	s_andn2_b32 vcc_lo, exec_lo, s8
	s_cbranch_vccnz .LBB46_83
; %bb.73:
	s_load_dwordx2 s[4:5], s[4:5], 0x48
	v_add_nc_u32_e32 v1, s34, v17
	s_waitcnt lgkmcnt(0)
	v_cmp_ge_f64_e32 vcc_lo, s[4:5], v[18:19]
	s_and_b32 s5, s6, vcc_lo
	s_and_saveexec_b32 s4, s5
	s_cbranch_execz .LBB46_78
; %bb.74:
	s_mov_b32 s8, exec_lo
	s_brev_b32 s5, -2
.LBB46_75:                              ; =>This Inner Loop Header: Depth=1
	s_ff1_i32_b32 s9, s8
	v_readlane_b32 s10, v1, s9
	s_lshl_b32 s9, 1, s9
	s_andn2_b32 s8, s8, s9
	s_min_i32 s5, s5, s10
	s_cmp_lg_u32 s8, 0
	s_cbranch_scc1 .LBB46_75
; %bb.76:
	v_mbcnt_lo_u32_b32 v2, exec_lo, 0
	s_mov_b32 s8, exec_lo
	v_cmpx_eq_u32_e32 0, v2
	s_xor_b32 s8, exec_lo, s8
	s_cbranch_execz .LBB46_78
; %bb.77:
	v_mov_b32_e32 v2, 0
	v_mov_b32_e32 v3, s5
	global_atomic_smin v2, v3, s[22:23]
.LBB46_78:
	s_or_b32 exec_lo, exec_lo, s4
	v_cmp_eq_f64_e32 vcc_lo, 0, v[5:6]
	v_cmp_eq_f64_e64 s4, 0, v[7:8]
	s_and_b32 s4, vcc_lo, s4
	s_and_b32 s4, s6, s4
	s_and_b32 exec_lo, exec_lo, s4
	s_cbranch_execz .LBB46_83
; %bb.79:
	s_mov_b32 s5, exec_lo
	s_brev_b32 s4, -2
.LBB46_80:                              ; =>This Inner Loop Header: Depth=1
	s_ff1_i32_b32 s6, s5
	v_readlane_b32 s8, v1, s6
	s_lshl_b32 s6, 1, s6
	s_andn2_b32 s5, s5, s6
	s_min_i32 s4, s4, s8
	s_cmp_lg_u32 s5, 0
	s_cbranch_scc1 .LBB46_80
; %bb.81:
	v_mbcnt_lo_u32_b32 v1, exec_lo, 0
	s_mov_b32 s5, exec_lo
	v_cmpx_eq_u32_e32 0, v1
	s_xor_b32 s5, exec_lo, s5
	s_cbranch_execz .LBB46_83
; %bb.82:
	v_mov_b32_e32 v1, 0
	v_mov_b32_e32 v2, s4
	global_atomic_smin v1, v2, s[20:21]
.LBB46_83:
	s_or_b32 exec_lo, exec_lo, s7
	v_cmp_eq_u32_e32 vcc_lo, 0, v0
	s_waitcnt_vscnt null, 0x0
	buffer_gl1_inv
	buffer_gl0_inv
	s_and_b32 exec_lo, exec_lo, vcc_lo
	s_cbranch_execz .LBB46_85
; %bb.84:
	v_add_co_u32 v0, vcc_lo, s16, v13
	v_add_co_ci_u32_e64 v1, null, s17, v14, vcc_lo
	v_mov_b32_e32 v2, 1
	global_store_dword v[0:1], v2, off
.LBB46_85:
	s_endpgm
	.section	.rodata,"a",@progbits
	.p2align	6, 0x0
	.amdhsa_kernel _ZN9rocsparseL12csrilu0_hashILj256ELj64ELj1E21rocsparse_complex_numIdEEEviPKiS4_PT2_S4_PiS4_S7_S7_d21rocsparse_index_base_imNS_24const_host_device_scalarIfEENS9_IdEENS9_IS5_EEb
		.amdhsa_group_segment_fixed_size 2048
		.amdhsa_private_segment_fixed_size 16
		.amdhsa_kernarg_size 132
		.amdhsa_user_sgpr_count 8
		.amdhsa_user_sgpr_private_segment_buffer 1
		.amdhsa_user_sgpr_dispatch_ptr 0
		.amdhsa_user_sgpr_queue_ptr 0
		.amdhsa_user_sgpr_kernarg_segment_ptr 1
		.amdhsa_user_sgpr_dispatch_id 0
		.amdhsa_user_sgpr_flat_scratch_init 1
		.amdhsa_user_sgpr_private_segment_size 0
		.amdhsa_wavefront_size32 1
		.amdhsa_uses_dynamic_stack 0
		.amdhsa_system_sgpr_private_segment_wavefront_offset 1
		.amdhsa_system_sgpr_workgroup_id_x 1
		.amdhsa_system_sgpr_workgroup_id_y 0
		.amdhsa_system_sgpr_workgroup_id_z 0
		.amdhsa_system_sgpr_workgroup_info 0
		.amdhsa_system_vgpr_workitem_id 0
		.amdhsa_next_free_vgpr 40
		.amdhsa_next_free_sgpr 43
		.amdhsa_reserve_vcc 1
		.amdhsa_reserve_flat_scratch 1
		.amdhsa_float_round_mode_32 0
		.amdhsa_float_round_mode_16_64 0
		.amdhsa_float_denorm_mode_32 3
		.amdhsa_float_denorm_mode_16_64 3
		.amdhsa_dx10_clamp 1
		.amdhsa_ieee_mode 1
		.amdhsa_fp16_overflow 0
		.amdhsa_workgroup_processor_mode 1
		.amdhsa_memory_ordered 1
		.amdhsa_forward_progress 1
		.amdhsa_shared_vgpr_count 0
		.amdhsa_exception_fp_ieee_invalid_op 0
		.amdhsa_exception_fp_denorm_src 0
		.amdhsa_exception_fp_ieee_div_zero 0
		.amdhsa_exception_fp_ieee_overflow 0
		.amdhsa_exception_fp_ieee_underflow 0
		.amdhsa_exception_fp_ieee_inexact 0
		.amdhsa_exception_int_div_zero 0
	.end_amdhsa_kernel
	.section	.text._ZN9rocsparseL12csrilu0_hashILj256ELj64ELj1E21rocsparse_complex_numIdEEEviPKiS4_PT2_S4_PiS4_S7_S7_d21rocsparse_index_base_imNS_24const_host_device_scalarIfEENS9_IdEENS9_IS5_EEb,"axG",@progbits,_ZN9rocsparseL12csrilu0_hashILj256ELj64ELj1E21rocsparse_complex_numIdEEEviPKiS4_PT2_S4_PiS4_S7_S7_d21rocsparse_index_base_imNS_24const_host_device_scalarIfEENS9_IdEENS9_IS5_EEb,comdat
.Lfunc_end46:
	.size	_ZN9rocsparseL12csrilu0_hashILj256ELj64ELj1E21rocsparse_complex_numIdEEEviPKiS4_PT2_S4_PiS4_S7_S7_d21rocsparse_index_base_imNS_24const_host_device_scalarIfEENS9_IdEENS9_IS5_EEb, .Lfunc_end46-_ZN9rocsparseL12csrilu0_hashILj256ELj64ELj1E21rocsparse_complex_numIdEEEviPKiS4_PT2_S4_PiS4_S7_S7_d21rocsparse_index_base_imNS_24const_host_device_scalarIfEENS9_IdEENS9_IS5_EEb
                                        ; -- End function
	.set _ZN9rocsparseL12csrilu0_hashILj256ELj64ELj1E21rocsparse_complex_numIdEEEviPKiS4_PT2_S4_PiS4_S7_S7_d21rocsparse_index_base_imNS_24const_host_device_scalarIfEENS9_IdEENS9_IS5_EEb.num_vgpr, 40
	.set _ZN9rocsparseL12csrilu0_hashILj256ELj64ELj1E21rocsparse_complex_numIdEEEviPKiS4_PT2_S4_PiS4_S7_S7_d21rocsparse_index_base_imNS_24const_host_device_scalarIfEENS9_IdEENS9_IS5_EEb.num_agpr, 0
	.set _ZN9rocsparseL12csrilu0_hashILj256ELj64ELj1E21rocsparse_complex_numIdEEEviPKiS4_PT2_S4_PiS4_S7_S7_d21rocsparse_index_base_imNS_24const_host_device_scalarIfEENS9_IdEENS9_IS5_EEb.numbered_sgpr, 43
	.set _ZN9rocsparseL12csrilu0_hashILj256ELj64ELj1E21rocsparse_complex_numIdEEEviPKiS4_PT2_S4_PiS4_S7_S7_d21rocsparse_index_base_imNS_24const_host_device_scalarIfEENS9_IdEENS9_IS5_EEb.num_named_barrier, 0
	.set _ZN9rocsparseL12csrilu0_hashILj256ELj64ELj1E21rocsparse_complex_numIdEEEviPKiS4_PT2_S4_PiS4_S7_S7_d21rocsparse_index_base_imNS_24const_host_device_scalarIfEENS9_IdEENS9_IS5_EEb.private_seg_size, 16
	.set _ZN9rocsparseL12csrilu0_hashILj256ELj64ELj1E21rocsparse_complex_numIdEEEviPKiS4_PT2_S4_PiS4_S7_S7_d21rocsparse_index_base_imNS_24const_host_device_scalarIfEENS9_IdEENS9_IS5_EEb.uses_vcc, 1
	.set _ZN9rocsparseL12csrilu0_hashILj256ELj64ELj1E21rocsparse_complex_numIdEEEviPKiS4_PT2_S4_PiS4_S7_S7_d21rocsparse_index_base_imNS_24const_host_device_scalarIfEENS9_IdEENS9_IS5_EEb.uses_flat_scratch, 1
	.set _ZN9rocsparseL12csrilu0_hashILj256ELj64ELj1E21rocsparse_complex_numIdEEEviPKiS4_PT2_S4_PiS4_S7_S7_d21rocsparse_index_base_imNS_24const_host_device_scalarIfEENS9_IdEENS9_IS5_EEb.has_dyn_sized_stack, 0
	.set _ZN9rocsparseL12csrilu0_hashILj256ELj64ELj1E21rocsparse_complex_numIdEEEviPKiS4_PT2_S4_PiS4_S7_S7_d21rocsparse_index_base_imNS_24const_host_device_scalarIfEENS9_IdEENS9_IS5_EEb.has_recursion, 0
	.set _ZN9rocsparseL12csrilu0_hashILj256ELj64ELj1E21rocsparse_complex_numIdEEEviPKiS4_PT2_S4_PiS4_S7_S7_d21rocsparse_index_base_imNS_24const_host_device_scalarIfEENS9_IdEENS9_IS5_EEb.has_indirect_call, 0
	.section	.AMDGPU.csdata,"",@progbits
; Kernel info:
; codeLenInByte = 3416
; TotalNumSgprs: 45
; NumVgprs: 40
; ScratchSize: 16
; MemoryBound: 0
; FloatMode: 240
; IeeeMode: 1
; LDSByteSize: 2048 bytes/workgroup (compile time only)
; SGPRBlocks: 0
; VGPRBlocks: 4
; NumSGPRsForWavesPerEU: 45
; NumVGPRsForWavesPerEU: 40
; Occupancy: 16
; WaveLimiterHint : 1
; COMPUTE_PGM_RSRC2:SCRATCH_EN: 1
; COMPUTE_PGM_RSRC2:USER_SGPR: 8
; COMPUTE_PGM_RSRC2:TRAP_HANDLER: 0
; COMPUTE_PGM_RSRC2:TGID_X_EN: 1
; COMPUTE_PGM_RSRC2:TGID_Y_EN: 0
; COMPUTE_PGM_RSRC2:TGID_Z_EN: 0
; COMPUTE_PGM_RSRC2:TIDIG_COMP_CNT: 0
	.section	.text._ZN9rocsparseL12csrilu0_hashILj256ELj64ELj2E21rocsparse_complex_numIdEEEviPKiS4_PT2_S4_PiS4_S7_S7_d21rocsparse_index_base_imNS_24const_host_device_scalarIfEENS9_IdEENS9_IS5_EEb,"axG",@progbits,_ZN9rocsparseL12csrilu0_hashILj256ELj64ELj2E21rocsparse_complex_numIdEEEviPKiS4_PT2_S4_PiS4_S7_S7_d21rocsparse_index_base_imNS_24const_host_device_scalarIfEENS9_IdEENS9_IS5_EEb,comdat
	.globl	_ZN9rocsparseL12csrilu0_hashILj256ELj64ELj2E21rocsparse_complex_numIdEEEviPKiS4_PT2_S4_PiS4_S7_S7_d21rocsparse_index_base_imNS_24const_host_device_scalarIfEENS9_IdEENS9_IS5_EEb ; -- Begin function _ZN9rocsparseL12csrilu0_hashILj256ELj64ELj2E21rocsparse_complex_numIdEEEviPKiS4_PT2_S4_PiS4_S7_S7_d21rocsparse_index_base_imNS_24const_host_device_scalarIfEENS9_IdEENS9_IS5_EEb
	.p2align	8
	.type	_ZN9rocsparseL12csrilu0_hashILj256ELj64ELj2E21rocsparse_complex_numIdEEEviPKiS4_PT2_S4_PiS4_S7_S7_d21rocsparse_index_base_imNS_24const_host_device_scalarIfEENS9_IdEENS9_IS5_EEb,@function
_ZN9rocsparseL12csrilu0_hashILj256ELj64ELj2E21rocsparse_complex_numIdEEEviPKiS4_PT2_S4_PiS4_S7_S7_d21rocsparse_index_base_imNS_24const_host_device_scalarIfEENS9_IdEENS9_IS5_EEb: ; @_ZN9rocsparseL12csrilu0_hashILj256ELj64ELj2E21rocsparse_complex_numIdEEEviPKiS4_PT2_S4_PiS4_S7_S7_d21rocsparse_index_base_imNS_24const_host_device_scalarIfEENS9_IdEENS9_IS5_EEb
; %bb.0:
	s_add_u32 s6, s6, s9
	s_addc_u32 s7, s7, 0
	s_setreg_b32 hwreg(HW_REG_FLAT_SCR_LO), s6
	s_setreg_b32 hwreg(HW_REG_FLAT_SCR_HI), s7
	s_add_u32 s0, s0, s9
	s_clause 0x3
	s_load_dword s9, s[4:5], 0x80
	s_load_dwordx2 s[34:35], s[4:5], 0x50
	s_load_dwordx8 s[24:31], s[4:5], 0x58
	s_load_dwordx2 s[6:7], s[4:5], 0x78
	s_addc_u32 s1, s1, 0
	s_waitcnt lgkmcnt(0)
	s_bitcmp1_b32 s9, 0
	s_cselect_b32 s9, -1, 0
	s_cmp_eq_u32 s35, 0
	v_mov_b32_e32 v1, s31
	s_cselect_b32 s14, -1, 0
	s_cmp_lg_u32 s35, 0
	v_mov_b32_e32 v2, s30
	s_cselect_b32 s12, -1, 0
	s_or_b32 s15, s14, s9
	buffer_store_dword v1, off, s[0:3], 0 offset:4
	s_xor_b32 s13, s15, -1
	s_and_b32 s10, s14, exec_lo
	s_cselect_b32 s11, 0, s29
	s_cselect_b32 s10, 0, s28
	s_and_b32 vcc_lo, exec_lo, s15
	buffer_store_dword v2, off, s[0:3], 0
	s_cbranch_vccnz .LBB47_2
; %bb.1:
	s_load_dword s10, s[26:27], 0x0
	s_waitcnt lgkmcnt(0)
	v_mov_b32_e32 v25, s10
	s_mov_b64 s[10:11], s[28:29]
	v_mov_b32_e32 v16, s11
	v_mov_b32_e32 v15, s10
	s_andn2_b32 vcc_lo, exec_lo, s13
	s_cbranch_vccz .LBB47_3
	s_branch .LBB47_4
.LBB47_2:
	v_cndmask_b32_e64 v25, s26, 0, s14
	v_mov_b32_e32 v16, s11
	v_mov_b32_e32 v15, s10
	s_andn2_b32 vcc_lo, exec_lo, s13
	s_cbranch_vccnz .LBB47_4
.LBB47_3:
	v_mov_b32_e32 v1, s28
	v_mov_b32_e32 v2, s29
	flat_load_dwordx2 v[15:16], v[1:2]
.LBB47_4:
	v_mov_b32_e32 v3, 0
	v_mov_b32_e32 v1, 0
	v_cndmask_b32_e64 v26, 0, 1, s12
	v_mov_b32_e32 v4, 0
	v_mov_b32_e32 v2, 0
	s_andn2_b32 vcc_lo, exec_lo, s12
	s_cbranch_vccnz .LBB47_7
; %bb.5:
	s_mov_b64 s[10:11], src_private_base
	s_xor_b32 s10, s9, -1
	s_and_b32 s9, s9, exec_lo
	s_cselect_b32 s9, 0, s30
	s_cselect_b32 s11, s11, s31
	v_mov_b32_e32 v1, s9
	v_mov_b32_e32 v2, s11
	;; [unrolled: 1-line block ×4, first 2 shown]
	s_andn2_b32 vcc_lo, exec_lo, s10
	flat_load_dwordx2 v[1:2], v[1:2]
	s_cbranch_vccnz .LBB47_7
; %bb.6:
	v_mov_b32_e32 v3, s30
	v_mov_b32_e32 v4, s31
	flat_load_dwordx2 v[3:4], v[3:4] offset:8
.LBB47_7:
	v_lshrrev_b32_e32 v5, 6, v0
	v_and_b32_e32 v24, 63, v0
	s_mov_b32 s6, 0
	v_lshlrev_b32_e32 v7, 9, v5
	v_lshlrev_b32_e32 v8, 2, v24
	v_or_b32_e32 v6, 0xffffffc0, v24
	v_or3_b32 v7, v7, v8, 0x800
	v_mov_b32_e32 v8, -1
.LBB47_8:                               ; =>This Inner Loop Header: Depth=1
	v_add_co_u32 v6, s7, v6, 64
	s_xor_b32 s7, s7, -1
	ds_write_b32 v7, v8
	v_add_nc_u32_e32 v7, 0x100, v7
	s_and_b32 s7, exec_lo, s7
	s_or_b32 s6, s7, s6
	s_andn2_b32 exec_lo, exec_lo, s6
	s_cbranch_execnz .LBB47_8
; %bb.9:
	s_or_b32 exec_lo, exec_lo, s6
	s_load_dword s6, s[4:5], 0x0
	s_lshl_b32 s7, s8, 2
	s_waitcnt vmcnt(0) lgkmcnt(0)
	s_waitcnt_vscnt null, 0x0
	buffer_gl0_inv
	v_and_or_b32 v5, 0x3fffffc, s7, v5
	v_cmp_gt_i32_e32 vcc_lo, s6, v5
	s_and_saveexec_b32 s6, vcc_lo
	s_cbranch_execz .LBB47_87
; %bb.10:
	s_load_dwordx16 s[8:23], s[4:5], 0x8
	v_lshlrev_b32_e32 v5, 2, v5
	v_lshlrev_b32_e32 v0, 3, v0
	s_mov_b32 s6, exec_lo
	v_and_b32_e32 v0, 0x600, v0
	v_or_b32_e32 v27, 0x800, v0
	s_waitcnt lgkmcnt(0)
	global_load_dword v17, v5, s[18:19]
	s_waitcnt vmcnt(0)
	v_ashrrev_i32_e32 v18, 31, v17
	v_lshlrev_b64 v[13:14], 2, v[17:18]
	v_add_co_u32 v5, vcc_lo, s8, v13
	v_add_co_ci_u32_e64 v6, null, s9, v14, vcc_lo
	v_add_co_u32 v7, vcc_lo, s14, v13
	v_add_co_ci_u32_e64 v8, null, s15, v14, vcc_lo
	global_load_dwordx2 v[5:6], v[5:6], off
	global_load_dword v18, v[7:8], off
	s_waitcnt vmcnt(1)
	v_subrev_nc_u32_e32 v19, s34, v5
	v_subrev_nc_u32_e32 v7, s34, v6
	v_add_nc_u32_e32 v5, v19, v24
	v_cmpx_lt_i32_e64 v5, v7
	s_cbranch_execz .LBB47_33
; %bb.11:
	v_mov_b32_e32 v8, -1
	s_mov_b32 s7, 0
	s_branch .LBB47_13
.LBB47_12:                              ;   in Loop: Header=BB47_13 Depth=1
	s_or_b32 exec_lo, exec_lo, s18
	v_add_nc_u32_e32 v5, 64, v5
	v_cmp_ge_i32_e32 vcc_lo, v5, v7
	s_or_b32 s7, vcc_lo, s7
	s_andn2_b32 exec_lo, exec_lo, s7
	s_cbranch_execz .LBB47_33
.LBB47_13:                              ; =>This Loop Header: Depth=1
                                        ;     Child Loop BB47_22 Depth 2
	v_ashrrev_i32_e32 v6, 31, v5
	s_mov_b32 s18, 0
                                        ; implicit-def: $sgpr19
                                        ; implicit-def: $sgpr26
                                        ; implicit-def: $sgpr27
	v_lshlrev_b64 v[9:10], 2, v[5:6]
	v_add_co_u32 v9, vcc_lo, s10, v9
	v_add_co_ci_u32_e64 v10, null, s11, v10, vcc_lo
	global_load_dword v6, v[9:10], off
	v_mov_b32_e32 v9, 0x80
	s_waitcnt vmcnt(0)
	v_mul_lo_u32 v11, 0x67, v6
	s_branch .LBB47_22
.LBB47_14:                              ;   in Loop: Header=BB47_22 Depth=2
	s_or_b32 exec_lo, exec_lo, s39
	s_orn2_b32 s37, s37, exec_lo
	s_orn2_b32 s38, s38, exec_lo
.LBB47_15:                              ;   in Loop: Header=BB47_22 Depth=2
	s_or_b32 exec_lo, exec_lo, s36
	s_and_b32 s37, s37, exec_lo
	s_orn2_b32 s36, s38, exec_lo
.LBB47_16:                              ;   in Loop: Header=BB47_22 Depth=2
	s_or_b32 exec_lo, exec_lo, s35
	s_orn2_b32 s35, s37, exec_lo
	s_orn2_b32 s36, s36, exec_lo
.LBB47_17:                              ;   in Loop: Header=BB47_22 Depth=2
	s_or_b32 exec_lo, exec_lo, s33
	s_and_b32 s35, s35, exec_lo
	s_orn2_b32 s33, s36, exec_lo
.LBB47_18:                              ;   in Loop: Header=BB47_22 Depth=2
	s_or_b32 exec_lo, exec_lo, s31
	s_orn2_b32 s31, s35, exec_lo
	s_orn2_b32 s33, s33, exec_lo
.LBB47_19:                              ;   in Loop: Header=BB47_22 Depth=2
	s_or_b32 exec_lo, exec_lo, s30
	s_and_b32 s31, s31, exec_lo
	s_orn2_b32 s30, s33, exec_lo
.LBB47_20:                              ;   in Loop: Header=BB47_22 Depth=2
	s_or_b32 exec_lo, exec_lo, s29
	s_andn2_b32 s27, s27, exec_lo
	s_and_b32 s29, s31, exec_lo
	s_andn2_b32 s26, s26, exec_lo
	s_and_b32 s30, s30, exec_lo
	s_or_b32 s27, s27, s29
	s_or_b32 s26, s26, s30
.LBB47_21:                              ;   in Loop: Header=BB47_22 Depth=2
	s_or_b32 exec_lo, exec_lo, s28
	s_and_b32 s28, exec_lo, s26
	s_or_b32 s18, s28, s18
	s_andn2_b32 s19, s19, exec_lo
	s_and_b32 s28, s27, exec_lo
	s_or_b32 s19, s19, s28
	s_andn2_b32 exec_lo, exec_lo, s18
	s_cbranch_execz .LBB47_31
.LBB47_22:                              ;   Parent Loop BB47_13 Depth=1
                                        ; =>  This Inner Loop Header: Depth=2
	v_and_b32_e32 v10, 0x7f, v11
	s_or_b32 s27, s27, exec_lo
	s_or_b32 s26, s26, exec_lo
	s_mov_b32 s28, exec_lo
	v_lshl_add_u32 v12, v10, 2, v27
	ds_read_b32 v20, v12
	s_waitcnt lgkmcnt(0)
	v_cmpx_ne_u32_e64 v20, v6
	s_cbranch_execz .LBB47_21
; %bb.23:                               ;   in Loop: Header=BB47_22 Depth=2
	ds_cmpst_rtn_b32 v12, v12, v8, v6
	s_mov_b32 s30, -1
	s_mov_b32 s31, 0
	s_mov_b32 s29, exec_lo
	s_waitcnt lgkmcnt(0)
	v_cmpx_ne_u32_e32 -1, v12
	s_cbranch_execz .LBB47_20
; %bb.24:                               ;   in Loop: Header=BB47_22 Depth=2
	v_add_nc_u32_e32 v10, 1, v11
	s_mov_b32 s33, -1
	s_mov_b32 s31, -1
	s_mov_b32 s30, exec_lo
	v_and_b32_e32 v10, 0x7f, v10
	v_lshl_add_u32 v12, v10, 2, v27
	ds_read_b32 v20, v12
	s_waitcnt lgkmcnt(0)
	v_cmpx_ne_u32_e64 v20, v6
	s_cbranch_execz .LBB47_19
; %bb.25:                               ;   in Loop: Header=BB47_22 Depth=2
	ds_cmpst_rtn_b32 v12, v12, v8, v6
	s_mov_b32 s35, 0
	s_mov_b32 s31, exec_lo
	s_waitcnt lgkmcnt(0)
	v_cmpx_ne_u32_e32 -1, v12
	s_cbranch_execz .LBB47_18
; %bb.26:                               ;   in Loop: Header=BB47_22 Depth=2
	v_add_nc_u32_e32 v10, 2, v11
	s_mov_b32 s36, -1
	s_mov_b32 s35, -1
	s_mov_b32 s33, exec_lo
	v_and_b32_e32 v10, 0x7f, v10
	v_lshl_add_u32 v12, v10, 2, v27
	ds_read_b32 v20, v12
	s_waitcnt lgkmcnt(0)
	v_cmpx_ne_u32_e64 v20, v6
	s_cbranch_execz .LBB47_17
; %bb.27:                               ;   in Loop: Header=BB47_22 Depth=2
	ds_cmpst_rtn_b32 v12, v12, v8, v6
	s_mov_b32 s37, 0
	s_mov_b32 s35, exec_lo
	s_waitcnt lgkmcnt(0)
	v_cmpx_ne_u32_e32 -1, v12
	s_cbranch_execz .LBB47_16
; %bb.28:                               ;   in Loop: Header=BB47_22 Depth=2
	v_add_nc_u32_e32 v10, 3, v11
	s_mov_b32 s38, -1
	s_mov_b32 s37, -1
	v_and_b32_e32 v10, 0x7f, v10
	v_lshl_add_u32 v12, v10, 2, v27
	ds_read_b32 v11, v12
	s_waitcnt lgkmcnt(0)
	v_cmp_ne_u32_e32 vcc_lo, v11, v6
                                        ; implicit-def: $vgpr11
	s_and_saveexec_b32 s36, vcc_lo
	s_cbranch_execz .LBB47_15
; %bb.29:                               ;   in Loop: Header=BB47_22 Depth=2
	ds_cmpst_rtn_b32 v11, v12, v8, v6
	s_mov_b32 s37, 0
	s_waitcnt lgkmcnt(0)
	v_cmp_ne_u32_e32 vcc_lo, -1, v11
                                        ; implicit-def: $vgpr11
	s_and_saveexec_b32 s39, vcc_lo
	s_cbranch_execz .LBB47_14
; %bb.30:                               ;   in Loop: Header=BB47_22 Depth=2
	v_add_nc_u32_e32 v9, -4, v9
	v_add_nc_u32_e32 v11, 1, v10
	s_mov_b32 s37, exec_lo
	v_cmp_eq_u32_e32 vcc_lo, 0, v9
	s_orn2_b32 s38, vcc_lo, exec_lo
	s_branch .LBB47_14
.LBB47_31:                              ;   in Loop: Header=BB47_13 Depth=1
	s_or_b32 exec_lo, exec_lo, s18
	s_xor_b32 s18, s19, -1
	s_and_saveexec_b32 s19, s18
	s_xor_b32 s18, exec_lo, s19
	s_cbranch_execz .LBB47_12
; %bb.32:                               ;   in Loop: Header=BB47_13 Depth=1
	v_lshl_add_u32 v6, v10, 2, v0
	ds_write_b32 v6, v5
	s_branch .LBB47_12
.LBB47_33:
	s_or_b32 exec_lo, exec_lo, s6
	s_mov_b32 s7, exec_lo
	s_waitcnt vmcnt(0) lgkmcnt(0)
	buffer_gl0_inv
	v_cmpx_lt_i32_e64 v19, v18
	s_cbranch_execz .LBB47_63
; %bb.34:
	v_add_nc_u32_e32 v28, 1, v24
	s_mov_b32 s18, 0
	s_branch .LBB47_37
.LBB47_35:                              ;   in Loop: Header=BB47_37 Depth=1
	s_or_b32 exec_lo, exec_lo, s19
	v_add_nc_u32_e32 v19, 1, v19
	v_cmp_ge_i32_e32 vcc_lo, v19, v18
	s_orn2_b32 s19, vcc_lo, exec_lo
.LBB47_36:                              ;   in Loop: Header=BB47_37 Depth=1
	s_or_b32 exec_lo, exec_lo, s6
	s_and_b32 s6, exec_lo, s19
	s_or_b32 s18, s6, s18
	s_andn2_b32 exec_lo, exec_lo, s18
	s_cbranch_execz .LBB47_63
.LBB47_37:                              ; =>This Loop Header: Depth=1
                                        ;     Child Loop BB47_38 Depth 2
                                        ;     Child Loop BB47_43 Depth 2
                                        ;       Child Loop BB47_52 Depth 3
	v_ashrrev_i32_e32 v20, 31, v19
	s_mov_b32 s6, 0
	v_lshlrev_b64 v[5:6], 2, v[19:20]
	v_lshlrev_b64 v[7:8], 4, v[19:20]
	v_add_co_u32 v5, vcc_lo, s10, v5
	v_add_co_ci_u32_e64 v6, null, s11, v6, vcc_lo
	v_add_co_u32 v20, vcc_lo, s12, v7
	v_add_co_ci_u32_e64 v21, null, s13, v8, vcc_lo
	global_load_dword v5, v[5:6], off
	s_waitcnt vmcnt(0)
	v_subrev_nc_u32_e32 v5, s34, v5
	v_ashrrev_i32_e32 v6, 31, v5
	v_lshlrev_b64 v[9:10], 2, v[5:6]
	v_add_co_u32 v11, vcc_lo, s8, v9
	v_add_co_ci_u32_e64 v12, null, s9, v10, vcc_lo
	v_add_co_u32 v22, vcc_lo, s14, v9
	v_add_co_ci_u32_e64 v23, null, s15, v10, vcc_lo
	global_load_dwordx4 v[5:8], v[20:21], off
	global_load_dword v11, v[11:12], off offset:4
	global_load_dword v12, v[22:23], off
	v_add_co_u32 v9, vcc_lo, s16, v9
	v_add_co_ci_u32_e64 v10, null, s17, v10, vcc_lo
.LBB47_38:                              ;   Parent Loop BB47_37 Depth=1
                                        ; =>  This Inner Loop Header: Depth=2
	global_load_dword v22, v[9:10], off glc dlc
	s_waitcnt vmcnt(0)
	v_cmp_ne_u32_e32 vcc_lo, 0, v22
	s_or_b32 s6, vcc_lo, s6
	s_andn2_b32 exec_lo, exec_lo, s6
	s_cbranch_execnz .LBB47_38
; %bb.39:                               ;   in Loop: Header=BB47_37 Depth=1
	s_or_b32 exec_lo, exec_lo, s6
	v_subrev_nc_u32_e32 v29, s34, v11
	v_cmp_eq_u32_e32 vcc_lo, -1, v12
	buffer_gl1_inv
	buffer_gl0_inv
	s_mov_b32 s19, -1
	v_add_nc_u32_e32 v9, -1, v29
	v_cndmask_b32_e32 v22, v12, v9, vcc_lo
	v_ashrrev_i32_e32 v23, 31, v22
	v_lshlrev_b64 v[9:10], 4, v[22:23]
	v_add_co_u32 v9, vcc_lo, s12, v9
	v_add_co_ci_u32_e64 v10, null, s13, v10, vcc_lo
	global_load_dwordx4 v[9:12], v[9:10], off
	s_waitcnt vmcnt(0)
	v_cmp_neq_f64_e32 vcc_lo, 0, v[9:10]
	v_cmp_neq_f64_e64 s6, 0, v[11:12]
	s_or_b32 s26, vcc_lo, s6
	s_and_saveexec_b32 s6, s26
	s_cbranch_execz .LBB47_36
; %bb.40:                               ;   in Loop: Header=BB47_37 Depth=1
	v_mul_f64 v[30:31], v[11:12], v[11:12]
	s_mov_b32 s19, exec_lo
	v_fma_f64 v[30:31], v[9:10], v[9:10], v[30:31]
	v_div_scale_f64 v[32:33], null, v[30:31], v[30:31], 1.0
	v_div_scale_f64 v[38:39], vcc_lo, 1.0, v[30:31], 1.0
	v_rcp_f64_e32 v[34:35], v[32:33]
	v_fma_f64 v[36:37], -v[32:33], v[34:35], 1.0
	v_fma_f64 v[34:35], v[34:35], v[36:37], v[34:35]
	v_fma_f64 v[36:37], -v[32:33], v[34:35], 1.0
	v_fma_f64 v[34:35], v[34:35], v[36:37], v[34:35]
	v_mul_f64 v[36:37], v[38:39], v[34:35]
	v_fma_f64 v[32:33], -v[32:33], v[36:37], v[38:39]
	v_mul_f64 v[38:39], v[7:8], v[11:12]
	v_mul_f64 v[11:12], v[11:12], -v[5:6]
	v_div_fmas_f64 v[32:33], v[32:33], v[34:35], v[36:37]
	v_fma_f64 v[5:6], v[5:6], v[9:10], v[38:39]
	v_fma_f64 v[7:8], v[7:8], v[9:10], v[11:12]
	v_add_nc_u32_e32 v9, v28, v22
	v_div_fixup_f64 v[30:31], v[32:33], v[30:31], 1.0
	v_mul_f64 v[5:6], v[5:6], v[30:31]
	v_mul_f64 v[7:8], v[7:8], v[30:31]
	global_store_dwordx4 v[20:21], v[5:8], off
	v_cmpx_lt_i32_e64 v9, v29
	s_cbranch_execz .LBB47_35
; %bb.41:                               ;   in Loop: Header=BB47_37 Depth=1
	s_mov_b32 s26, 0
	s_branch .LBB47_43
.LBB47_42:                              ;   in Loop: Header=BB47_43 Depth=2
	s_or_b32 exec_lo, exec_lo, s27
	v_add_nc_u32_e32 v9, 64, v9
	v_cmp_ge_i32_e32 vcc_lo, v9, v29
	s_or_b32 s26, vcc_lo, s26
	s_andn2_b32 exec_lo, exec_lo, s26
	s_cbranch_execz .LBB47_35
.LBB47_43:                              ;   Parent Loop BB47_37 Depth=1
                                        ; =>  This Loop Header: Depth=2
                                        ;       Child Loop BB47_52 Depth 3
	v_ashrrev_i32_e32 v10, 31, v9
	s_mov_b32 s27, 0
                                        ; implicit-def: $sgpr28
                                        ; implicit-def: $sgpr29
                                        ; implicit-def: $sgpr30
	v_lshlrev_b64 v[11:12], 2, v[9:10]
	v_add_co_u32 v11, vcc_lo, s10, v11
	v_add_co_ci_u32_e64 v12, null, s11, v12, vcc_lo
	global_load_dword v11, v[11:12], off
	v_mov_b32_e32 v12, 0x80
	s_waitcnt vmcnt(0)
	v_mul_lo_u32 v21, 0x67, v11
	s_branch .LBB47_52
.LBB47_44:                              ;   in Loop: Header=BB47_52 Depth=3
	s_or_b32 exec_lo, exec_lo, s42
	s_orn2_b32 s40, s40, exec_lo
	s_orn2_b32 s41, s41, exec_lo
.LBB47_45:                              ;   in Loop: Header=BB47_52 Depth=3
	s_or_b32 exec_lo, exec_lo, s39
	s_and_b32 s40, s40, exec_lo
	s_orn2_b32 s39, s41, exec_lo
.LBB47_46:                              ;   in Loop: Header=BB47_52 Depth=3
	s_or_b32 exec_lo, exec_lo, s38
	s_orn2_b32 s38, s40, exec_lo
	s_orn2_b32 s39, s39, exec_lo
.LBB47_47:                              ;   in Loop: Header=BB47_52 Depth=3
	s_or_b32 exec_lo, exec_lo, s37
	s_and_b32 s38, s38, exec_lo
	s_orn2_b32 s37, s39, exec_lo
.LBB47_48:                              ;   in Loop: Header=BB47_52 Depth=3
	s_or_b32 exec_lo, exec_lo, s36
	s_orn2_b32 s36, s38, exec_lo
	s_orn2_b32 s37, s37, exec_lo
.LBB47_49:                              ;   in Loop: Header=BB47_52 Depth=3
	s_or_b32 exec_lo, exec_lo, s35
	s_and_b32 s36, s36, exec_lo
	s_orn2_b32 s35, s37, exec_lo
.LBB47_50:                              ;   in Loop: Header=BB47_52 Depth=3
	s_or_b32 exec_lo, exec_lo, s33
	s_andn2_b32 s30, s30, exec_lo
	s_and_b32 s33, s36, exec_lo
	s_andn2_b32 s29, s29, exec_lo
	s_and_b32 s35, s35, exec_lo
	s_or_b32 s30, s30, s33
	s_or_b32 s29, s29, s35
.LBB47_51:                              ;   in Loop: Header=BB47_52 Depth=3
	s_or_b32 exec_lo, exec_lo, s31
	s_and_b32 s31, exec_lo, s29
	s_or_b32 s27, s31, s27
	s_andn2_b32 s28, s28, exec_lo
	s_and_b32 s31, s30, exec_lo
	s_or_b32 s28, s28, s31
	s_andn2_b32 exec_lo, exec_lo, s27
	s_cbranch_execz .LBB47_61
.LBB47_52:                              ;   Parent Loop BB47_37 Depth=1
                                        ;     Parent Loop BB47_43 Depth=2
                                        ; =>    This Inner Loop Header: Depth=3
	v_and_b32_e32 v20, 0x7f, v21
	s_or_b32 s30, s30, exec_lo
	s_or_b32 s29, s29, exec_lo
	s_mov_b32 s31, exec_lo
	v_lshl_add_u32 v22, v20, 2, v27
	ds_read_b32 v22, v22
	s_waitcnt lgkmcnt(0)
	v_cmpx_ne_u32_e32 -1, v22
	s_cbranch_execz .LBB47_51
; %bb.53:                               ;   in Loop: Header=BB47_52 Depth=3
	s_mov_b32 s35, -1
	s_mov_b32 s36, 0
	s_mov_b32 s33, exec_lo
	v_cmpx_ne_u32_e64 v22, v11
	s_cbranch_execz .LBB47_50
; %bb.54:                               ;   in Loop: Header=BB47_52 Depth=3
	v_add_nc_u32_e32 v20, 1, v21
	s_mov_b32 s37, -1
	s_mov_b32 s36, -1
	s_mov_b32 s35, exec_lo
	v_and_b32_e32 v20, 0x7f, v20
	v_lshl_add_u32 v22, v20, 2, v27
	ds_read_b32 v22, v22
	s_waitcnt lgkmcnt(0)
	v_cmpx_ne_u32_e32 -1, v22
	s_cbranch_execz .LBB47_49
; %bb.55:                               ;   in Loop: Header=BB47_52 Depth=3
	s_mov_b32 s38, 0
	s_mov_b32 s36, exec_lo
	v_cmpx_ne_u32_e64 v22, v11
	s_cbranch_execz .LBB47_48
; %bb.56:                               ;   in Loop: Header=BB47_52 Depth=3
	v_add_nc_u32_e32 v20, 2, v21
	s_mov_b32 s39, -1
	s_mov_b32 s38, -1
	s_mov_b32 s37, exec_lo
	v_and_b32_e32 v20, 0x7f, v20
	v_lshl_add_u32 v22, v20, 2, v27
	ds_read_b32 v22, v22
	s_waitcnt lgkmcnt(0)
	v_cmpx_ne_u32_e32 -1, v22
	s_cbranch_execz .LBB47_47
; %bb.57:                               ;   in Loop: Header=BB47_52 Depth=3
	s_mov_b32 s40, 0
	s_mov_b32 s38, exec_lo
	v_cmpx_ne_u32_e64 v22, v11
	s_cbranch_execz .LBB47_46
; %bb.58:                               ;   in Loop: Header=BB47_52 Depth=3
	v_add_nc_u32_e32 v20, 3, v21
	s_mov_b32 s41, -1
	s_mov_b32 s40, -1
	s_mov_b32 s39, exec_lo
	v_and_b32_e32 v20, 0x7f, v20
	v_lshl_add_u32 v21, v20, 2, v27
	ds_read_b32 v22, v21
                                        ; implicit-def: $vgpr21
	s_waitcnt lgkmcnt(0)
	v_cmpx_ne_u32_e32 -1, v22
	s_cbranch_execz .LBB47_45
; %bb.59:                               ;   in Loop: Header=BB47_52 Depth=3
	s_mov_b32 s40, 0
	s_mov_b32 s42, exec_lo
                                        ; implicit-def: $vgpr21
	v_cmpx_ne_u32_e64 v22, v11
	s_cbranch_execz .LBB47_44
; %bb.60:                               ;   in Loop: Header=BB47_52 Depth=3
	v_add_nc_u32_e32 v12, -4, v12
	v_add_nc_u32_e32 v21, 1, v20
	s_mov_b32 s40, exec_lo
	v_cmp_eq_u32_e32 vcc_lo, 0, v12
	s_orn2_b32 s41, vcc_lo, exec_lo
	s_branch .LBB47_44
.LBB47_61:                              ;   in Loop: Header=BB47_43 Depth=2
	s_or_b32 exec_lo, exec_lo, s27
	s_xor_b32 s27, s28, -1
	s_and_saveexec_b32 s28, s27
	s_xor_b32 s27, exec_lo, s28
	s_cbranch_execz .LBB47_42
; %bb.62:                               ;   in Loop: Header=BB47_43 Depth=2
	v_lshl_add_u32 v11, v20, 2, v0
	v_lshlrev_b64 v[20:21], 4, v[9:10]
	ds_read_b32 v11, v11
	v_add_co_u32 v20, vcc_lo, s12, v20
	v_add_co_ci_u32_e64 v21, null, s13, v21, vcc_lo
	s_waitcnt lgkmcnt(0)
	v_ashrrev_i32_e32 v12, 31, v11
	v_lshlrev_b64 v[10:11], 4, v[11:12]
	v_add_co_u32 v10, vcc_lo, s12, v10
	v_add_co_ci_u32_e64 v11, null, s13, v11, vcc_lo
	s_clause 0x1
	global_load_dwordx4 v[20:23], v[20:21], off
	global_load_dwordx4 v[30:33], v[10:11], off
	s_waitcnt vmcnt(0)
	v_fma_f64 v[30:31], -v[5:6], v[20:21], v[30:31]
	v_fma_f64 v[32:33], -v[7:8], v[20:21], v[32:33]
	v_fma_f64 v[20:21], v[7:8], v[22:23], v[30:31]
	v_fma_f64 v[22:23], -v[5:6], v[22:23], v[32:33]
	global_store_dwordx4 v[10:11], v[20:23], off
	s_branch .LBB47_42
.LBB47_63:
	s_or_b32 exec_lo, exec_lo, s7
	s_mov_b32 s7, exec_lo
	s_waitcnt_vscnt null, 0x0
	buffer_gl0_inv
	v_cmpx_lt_i32_e32 -1, v18
	s_cbranch_execz .LBB47_85
; %bb.64:
	v_mov_b32_e32 v19, 0
	s_mov_b32 s6, exec_lo
	v_lshlrev_b64 v[5:6], 4, v[18:19]
	v_add_co_u32 v9, vcc_lo, s12, v5
	v_add_co_ci_u32_e64 v10, null, s13, v6, vcc_lo
	global_load_dwordx4 v[5:8], v[9:10], off
	s_waitcnt vmcnt(0)
	v_cmp_gt_f64_e32 vcc_lo, 0, v[5:6]
	v_xor_b32_e32 v0, 0x80000000, v6
	v_xor_b32_e32 v18, 0x80000000, v8
	v_mov_b32_e32 v11, v5
	v_mov_b32_e32 v20, v7
	v_cndmask_b32_e32 v12, v6, v0, vcc_lo
	v_cmp_gt_f64_e32 vcc_lo, 0, v[7:8]
	v_cndmask_b32_e32 v21, v8, v18, vcc_lo
                                        ; implicit-def: $vgpr18_vgpr19
	v_cmpx_ngt_f64_e32 v[11:12], v[20:21]
	s_xor_b32 s6, exec_lo, s6
	s_cbranch_execz .LBB47_68
; %bb.65:
	v_mov_b32_e32 v18, 0
	v_mov_b32_e32 v19, 0
	s_mov_b32 s8, exec_lo
	v_cmpx_neq_f64_e32 0, v[7:8]
	s_cbranch_execz .LBB47_67
; %bb.66:
	v_div_scale_f64 v[18:19], null, v[20:21], v[20:21], v[11:12]
	v_div_scale_f64 v[29:30], vcc_lo, v[11:12], v[20:21], v[11:12]
	v_rcp_f64_e32 v[22:23], v[18:19]
	v_fma_f64 v[27:28], -v[18:19], v[22:23], 1.0
	v_fma_f64 v[22:23], v[22:23], v[27:28], v[22:23]
	v_fma_f64 v[27:28], -v[18:19], v[22:23], 1.0
	v_fma_f64 v[22:23], v[22:23], v[27:28], v[22:23]
	v_mul_f64 v[27:28], v[29:30], v[22:23]
	v_fma_f64 v[18:19], -v[18:19], v[27:28], v[29:30]
	v_div_fmas_f64 v[18:19], v[18:19], v[22:23], v[27:28]
	v_div_fixup_f64 v[11:12], v[18:19], v[20:21], v[11:12]
	v_fma_f64 v[11:12], v[11:12], v[11:12], 1.0
	v_cmp_gt_f64_e32 vcc_lo, 0x10000000, v[11:12]
	v_cndmask_b32_e64 v0, 0, 0x100, vcc_lo
	v_ldexp_f64 v[11:12], v[11:12], v0
	v_cndmask_b32_e64 v0, 0, 0xffffff80, vcc_lo
	v_rsq_f64_e32 v[18:19], v[11:12]
	v_cmp_class_f64_e64 vcc_lo, v[11:12], 0x260
	v_mul_f64 v[22:23], v[11:12], v[18:19]
	v_mul_f64 v[18:19], v[18:19], 0.5
	v_fma_f64 v[27:28], -v[18:19], v[22:23], 0.5
	v_fma_f64 v[22:23], v[22:23], v[27:28], v[22:23]
	v_fma_f64 v[18:19], v[18:19], v[27:28], v[18:19]
	v_fma_f64 v[27:28], -v[22:23], v[22:23], v[11:12]
	v_fma_f64 v[22:23], v[27:28], v[18:19], v[22:23]
	v_fma_f64 v[27:28], -v[22:23], v[22:23], v[11:12]
	v_fma_f64 v[18:19], v[27:28], v[18:19], v[22:23]
	v_ldexp_f64 v[18:19], v[18:19], v0
	v_cndmask_b32_e32 v12, v19, v12, vcc_lo
	v_cndmask_b32_e32 v11, v18, v11, vcc_lo
	v_mul_f64 v[18:19], v[20:21], v[11:12]
.LBB47_67:
	s_or_b32 exec_lo, exec_lo, s8
                                        ; implicit-def: $vgpr11_vgpr12
                                        ; implicit-def: $vgpr20_vgpr21
.LBB47_68:
	s_andn2_saveexec_b32 s6, s6
	s_cbranch_execz .LBB47_70
; %bb.69:
	v_div_scale_f64 v[18:19], null, v[11:12], v[11:12], v[20:21]
	v_div_scale_f64 v[29:30], vcc_lo, v[20:21], v[11:12], v[20:21]
	v_rcp_f64_e32 v[22:23], v[18:19]
	v_fma_f64 v[27:28], -v[18:19], v[22:23], 1.0
	v_fma_f64 v[22:23], v[22:23], v[27:28], v[22:23]
	v_fma_f64 v[27:28], -v[18:19], v[22:23], 1.0
	v_fma_f64 v[22:23], v[22:23], v[27:28], v[22:23]
	v_mul_f64 v[27:28], v[29:30], v[22:23]
	v_fma_f64 v[18:19], -v[18:19], v[27:28], v[29:30]
	v_div_fmas_f64 v[18:19], v[18:19], v[22:23], v[27:28]
	v_div_fixup_f64 v[18:19], v[18:19], v[11:12], v[20:21]
	v_fma_f64 v[18:19], v[18:19], v[18:19], 1.0
	v_cmp_gt_f64_e32 vcc_lo, 0x10000000, v[18:19]
	v_cndmask_b32_e64 v0, 0, 0x100, vcc_lo
	v_ldexp_f64 v[18:19], v[18:19], v0
	v_cndmask_b32_e64 v0, 0, 0xffffff80, vcc_lo
	v_rsq_f64_e32 v[20:21], v[18:19]
	v_cmp_class_f64_e64 vcc_lo, v[18:19], 0x260
	v_mul_f64 v[22:23], v[18:19], v[20:21]
	v_mul_f64 v[20:21], v[20:21], 0.5
	v_fma_f64 v[27:28], -v[20:21], v[22:23], 0.5
	v_fma_f64 v[22:23], v[22:23], v[27:28], v[22:23]
	v_fma_f64 v[20:21], v[20:21], v[27:28], v[20:21]
	v_fma_f64 v[27:28], -v[22:23], v[22:23], v[18:19]
	v_fma_f64 v[22:23], v[27:28], v[20:21], v[22:23]
	v_fma_f64 v[27:28], -v[22:23], v[22:23], v[18:19]
	v_fma_f64 v[20:21], v[27:28], v[20:21], v[22:23]
	v_ldexp_f64 v[20:21], v[20:21], v0
	v_cndmask_b32_e32 v19, v21, v19, vcc_lo
	v_cndmask_b32_e32 v18, v20, v18, vcc_lo
	v_mul_f64 v[18:19], v[11:12], v[18:19]
.LBB47_70:
	s_or_b32 exec_lo, exec_lo, s6
	v_cmp_ne_u32_e32 vcc_lo, 1, v26
	v_cmp_eq_u32_e64 s6, 0, v24
	s_mov_b32 s8, -1
	s_cbranch_vccnz .LBB47_74
; %bb.71:
	v_cvt_f64_f32_e32 v[11:12], v25
	s_cmp_eq_u64 s[24:25], 8
	s_cselect_b32 vcc_lo, -1, 0
	v_cndmask_b32_e32 v12, v12, v16, vcc_lo
	v_cndmask_b32_e32 v11, v11, v15, vcc_lo
	v_cmp_le_f64_e32 vcc_lo, v[18:19], v[11:12]
	s_and_b32 s9, s6, vcc_lo
	s_and_saveexec_b32 s8, s9
	s_cbranch_execz .LBB47_73
; %bb.72:
	global_store_dwordx4 v[9:10], v[1:4], off
	s_waitcnt_vscnt null, 0x0
	buffer_gl1_inv
	buffer_gl0_inv
.LBB47_73:
	s_or_b32 exec_lo, exec_lo, s8
	s_mov_b32 s8, 0
.LBB47_74:
	s_andn2_b32 vcc_lo, exec_lo, s8
	s_cbranch_vccnz .LBB47_85
; %bb.75:
	s_load_dwordx2 s[4:5], s[4:5], 0x48
	v_add_nc_u32_e32 v0, s34, v17
	s_waitcnt lgkmcnt(0)
	v_cmp_ge_f64_e32 vcc_lo, s[4:5], v[18:19]
	s_and_b32 s5, s6, vcc_lo
	s_and_saveexec_b32 s4, s5
	s_cbranch_execz .LBB47_80
; %bb.76:
	s_mov_b32 s8, exec_lo
	s_brev_b32 s5, -2
.LBB47_77:                              ; =>This Inner Loop Header: Depth=1
	s_ff1_i32_b32 s9, s8
	v_readlane_b32 s10, v0, s9
	s_lshl_b32 s9, 1, s9
	s_andn2_b32 s8, s8, s9
	s_min_i32 s5, s5, s10
	s_cmp_lg_u32 s8, 0
	s_cbranch_scc1 .LBB47_77
; %bb.78:
	v_mbcnt_lo_u32_b32 v1, exec_lo, 0
	s_mov_b32 s8, exec_lo
	v_cmpx_eq_u32_e32 0, v1
	s_xor_b32 s8, exec_lo, s8
	s_cbranch_execz .LBB47_80
; %bb.79:
	v_mov_b32_e32 v1, 0
	v_mov_b32_e32 v2, s5
	global_atomic_smin v1, v2, s[22:23]
.LBB47_80:
	s_or_b32 exec_lo, exec_lo, s4
	v_cmp_eq_f64_e32 vcc_lo, 0, v[5:6]
	v_cmp_eq_f64_e64 s4, 0, v[7:8]
	s_and_b32 s4, vcc_lo, s4
	s_and_b32 s4, s6, s4
	s_and_b32 exec_lo, exec_lo, s4
	s_cbranch_execz .LBB47_85
; %bb.81:
	s_mov_b32 s5, exec_lo
	s_brev_b32 s4, -2
.LBB47_82:                              ; =>This Inner Loop Header: Depth=1
	s_ff1_i32_b32 s6, s5
	v_readlane_b32 s8, v0, s6
	s_lshl_b32 s6, 1, s6
	s_andn2_b32 s5, s5, s6
	s_min_i32 s4, s4, s8
	s_cmp_lg_u32 s5, 0
	s_cbranch_scc1 .LBB47_82
; %bb.83:
	v_mbcnt_lo_u32_b32 v0, exec_lo, 0
	s_mov_b32 s5, exec_lo
	v_cmpx_eq_u32_e32 0, v0
	s_xor_b32 s5, exec_lo, s5
	s_cbranch_execz .LBB47_85
; %bb.84:
	v_mov_b32_e32 v0, 0
	v_mov_b32_e32 v1, s4
	global_atomic_smin v0, v1, s[20:21]
.LBB47_85:
	s_or_b32 exec_lo, exec_lo, s7
	v_cmp_eq_u32_e32 vcc_lo, 0, v24
	s_waitcnt_vscnt null, 0x0
	buffer_gl1_inv
	buffer_gl0_inv
	s_and_b32 exec_lo, exec_lo, vcc_lo
	s_cbranch_execz .LBB47_87
; %bb.86:
	v_add_co_u32 v0, vcc_lo, s16, v13
	v_add_co_ci_u32_e64 v1, null, s17, v14, vcc_lo
	v_mov_b32_e32 v2, 1
	global_store_dword v[0:1], v2, off
.LBB47_87:
	s_endpgm
	.section	.rodata,"a",@progbits
	.p2align	6, 0x0
	.amdhsa_kernel _ZN9rocsparseL12csrilu0_hashILj256ELj64ELj2E21rocsparse_complex_numIdEEEviPKiS4_PT2_S4_PiS4_S7_S7_d21rocsparse_index_base_imNS_24const_host_device_scalarIfEENS9_IdEENS9_IS5_EEb
		.amdhsa_group_segment_fixed_size 4096
		.amdhsa_private_segment_fixed_size 16
		.amdhsa_kernarg_size 132
		.amdhsa_user_sgpr_count 8
		.amdhsa_user_sgpr_private_segment_buffer 1
		.amdhsa_user_sgpr_dispatch_ptr 0
		.amdhsa_user_sgpr_queue_ptr 0
		.amdhsa_user_sgpr_kernarg_segment_ptr 1
		.amdhsa_user_sgpr_dispatch_id 0
		.amdhsa_user_sgpr_flat_scratch_init 1
		.amdhsa_user_sgpr_private_segment_size 0
		.amdhsa_wavefront_size32 1
		.amdhsa_uses_dynamic_stack 0
		.amdhsa_system_sgpr_private_segment_wavefront_offset 1
		.amdhsa_system_sgpr_workgroup_id_x 1
		.amdhsa_system_sgpr_workgroup_id_y 0
		.amdhsa_system_sgpr_workgroup_id_z 0
		.amdhsa_system_sgpr_workgroup_info 0
		.amdhsa_system_vgpr_workitem_id 0
		.amdhsa_next_free_vgpr 40
		.amdhsa_next_free_sgpr 43
		.amdhsa_reserve_vcc 1
		.amdhsa_reserve_flat_scratch 1
		.amdhsa_float_round_mode_32 0
		.amdhsa_float_round_mode_16_64 0
		.amdhsa_float_denorm_mode_32 3
		.amdhsa_float_denorm_mode_16_64 3
		.amdhsa_dx10_clamp 1
		.amdhsa_ieee_mode 1
		.amdhsa_fp16_overflow 0
		.amdhsa_workgroup_processor_mode 1
		.amdhsa_memory_ordered 1
		.amdhsa_forward_progress 1
		.amdhsa_shared_vgpr_count 0
		.amdhsa_exception_fp_ieee_invalid_op 0
		.amdhsa_exception_fp_denorm_src 0
		.amdhsa_exception_fp_ieee_div_zero 0
		.amdhsa_exception_fp_ieee_overflow 0
		.amdhsa_exception_fp_ieee_underflow 0
		.amdhsa_exception_fp_ieee_inexact 0
		.amdhsa_exception_int_div_zero 0
	.end_amdhsa_kernel
	.section	.text._ZN9rocsparseL12csrilu0_hashILj256ELj64ELj2E21rocsparse_complex_numIdEEEviPKiS4_PT2_S4_PiS4_S7_S7_d21rocsparse_index_base_imNS_24const_host_device_scalarIfEENS9_IdEENS9_IS5_EEb,"axG",@progbits,_ZN9rocsparseL12csrilu0_hashILj256ELj64ELj2E21rocsparse_complex_numIdEEEviPKiS4_PT2_S4_PiS4_S7_S7_d21rocsparse_index_base_imNS_24const_host_device_scalarIfEENS9_IdEENS9_IS5_EEb,comdat
.Lfunc_end47:
	.size	_ZN9rocsparseL12csrilu0_hashILj256ELj64ELj2E21rocsparse_complex_numIdEEEviPKiS4_PT2_S4_PiS4_S7_S7_d21rocsparse_index_base_imNS_24const_host_device_scalarIfEENS9_IdEENS9_IS5_EEb, .Lfunc_end47-_ZN9rocsparseL12csrilu0_hashILj256ELj64ELj2E21rocsparse_complex_numIdEEEviPKiS4_PT2_S4_PiS4_S7_S7_d21rocsparse_index_base_imNS_24const_host_device_scalarIfEENS9_IdEENS9_IS5_EEb
                                        ; -- End function
	.set _ZN9rocsparseL12csrilu0_hashILj256ELj64ELj2E21rocsparse_complex_numIdEEEviPKiS4_PT2_S4_PiS4_S7_S7_d21rocsparse_index_base_imNS_24const_host_device_scalarIfEENS9_IdEENS9_IS5_EEb.num_vgpr, 40
	.set _ZN9rocsparseL12csrilu0_hashILj256ELj64ELj2E21rocsparse_complex_numIdEEEviPKiS4_PT2_S4_PiS4_S7_S7_d21rocsparse_index_base_imNS_24const_host_device_scalarIfEENS9_IdEENS9_IS5_EEb.num_agpr, 0
	.set _ZN9rocsparseL12csrilu0_hashILj256ELj64ELj2E21rocsparse_complex_numIdEEEviPKiS4_PT2_S4_PiS4_S7_S7_d21rocsparse_index_base_imNS_24const_host_device_scalarIfEENS9_IdEENS9_IS5_EEb.numbered_sgpr, 43
	.set _ZN9rocsparseL12csrilu0_hashILj256ELj64ELj2E21rocsparse_complex_numIdEEEviPKiS4_PT2_S4_PiS4_S7_S7_d21rocsparse_index_base_imNS_24const_host_device_scalarIfEENS9_IdEENS9_IS5_EEb.num_named_barrier, 0
	.set _ZN9rocsparseL12csrilu0_hashILj256ELj64ELj2E21rocsparse_complex_numIdEEEviPKiS4_PT2_S4_PiS4_S7_S7_d21rocsparse_index_base_imNS_24const_host_device_scalarIfEENS9_IdEENS9_IS5_EEb.private_seg_size, 16
	.set _ZN9rocsparseL12csrilu0_hashILj256ELj64ELj2E21rocsparse_complex_numIdEEEviPKiS4_PT2_S4_PiS4_S7_S7_d21rocsparse_index_base_imNS_24const_host_device_scalarIfEENS9_IdEENS9_IS5_EEb.uses_vcc, 1
	.set _ZN9rocsparseL12csrilu0_hashILj256ELj64ELj2E21rocsparse_complex_numIdEEEviPKiS4_PT2_S4_PiS4_S7_S7_d21rocsparse_index_base_imNS_24const_host_device_scalarIfEENS9_IdEENS9_IS5_EEb.uses_flat_scratch, 1
	.set _ZN9rocsparseL12csrilu0_hashILj256ELj64ELj2E21rocsparse_complex_numIdEEEviPKiS4_PT2_S4_PiS4_S7_S7_d21rocsparse_index_base_imNS_24const_host_device_scalarIfEENS9_IdEENS9_IS5_EEb.has_dyn_sized_stack, 0
	.set _ZN9rocsparseL12csrilu0_hashILj256ELj64ELj2E21rocsparse_complex_numIdEEEviPKiS4_PT2_S4_PiS4_S7_S7_d21rocsparse_index_base_imNS_24const_host_device_scalarIfEENS9_IdEENS9_IS5_EEb.has_recursion, 0
	.set _ZN9rocsparseL12csrilu0_hashILj256ELj64ELj2E21rocsparse_complex_numIdEEEviPKiS4_PT2_S4_PiS4_S7_S7_d21rocsparse_index_base_imNS_24const_host_device_scalarIfEENS9_IdEENS9_IS5_EEb.has_indirect_call, 0
	.section	.AMDGPU.csdata,"",@progbits
; Kernel info:
; codeLenInByte = 3524
; TotalNumSgprs: 45
; NumVgprs: 40
; ScratchSize: 16
; MemoryBound: 0
; FloatMode: 240
; IeeeMode: 1
; LDSByteSize: 4096 bytes/workgroup (compile time only)
; SGPRBlocks: 0
; VGPRBlocks: 4
; NumSGPRsForWavesPerEU: 45
; NumVGPRsForWavesPerEU: 40
; Occupancy: 16
; WaveLimiterHint : 1
; COMPUTE_PGM_RSRC2:SCRATCH_EN: 1
; COMPUTE_PGM_RSRC2:USER_SGPR: 8
; COMPUTE_PGM_RSRC2:TRAP_HANDLER: 0
; COMPUTE_PGM_RSRC2:TGID_X_EN: 1
; COMPUTE_PGM_RSRC2:TGID_Y_EN: 0
; COMPUTE_PGM_RSRC2:TGID_Z_EN: 0
; COMPUTE_PGM_RSRC2:TIDIG_COMP_CNT: 0
	.section	.text._ZN9rocsparseL12csrilu0_hashILj256ELj64ELj4E21rocsparse_complex_numIdEEEviPKiS4_PT2_S4_PiS4_S7_S7_d21rocsparse_index_base_imNS_24const_host_device_scalarIfEENS9_IdEENS9_IS5_EEb,"axG",@progbits,_ZN9rocsparseL12csrilu0_hashILj256ELj64ELj4E21rocsparse_complex_numIdEEEviPKiS4_PT2_S4_PiS4_S7_S7_d21rocsparse_index_base_imNS_24const_host_device_scalarIfEENS9_IdEENS9_IS5_EEb,comdat
	.globl	_ZN9rocsparseL12csrilu0_hashILj256ELj64ELj4E21rocsparse_complex_numIdEEEviPKiS4_PT2_S4_PiS4_S7_S7_d21rocsparse_index_base_imNS_24const_host_device_scalarIfEENS9_IdEENS9_IS5_EEb ; -- Begin function _ZN9rocsparseL12csrilu0_hashILj256ELj64ELj4E21rocsparse_complex_numIdEEEviPKiS4_PT2_S4_PiS4_S7_S7_d21rocsparse_index_base_imNS_24const_host_device_scalarIfEENS9_IdEENS9_IS5_EEb
	.p2align	8
	.type	_ZN9rocsparseL12csrilu0_hashILj256ELj64ELj4E21rocsparse_complex_numIdEEEviPKiS4_PT2_S4_PiS4_S7_S7_d21rocsparse_index_base_imNS_24const_host_device_scalarIfEENS9_IdEENS9_IS5_EEb,@function
_ZN9rocsparseL12csrilu0_hashILj256ELj64ELj4E21rocsparse_complex_numIdEEEviPKiS4_PT2_S4_PiS4_S7_S7_d21rocsparse_index_base_imNS_24const_host_device_scalarIfEENS9_IdEENS9_IS5_EEb: ; @_ZN9rocsparseL12csrilu0_hashILj256ELj64ELj4E21rocsparse_complex_numIdEEEviPKiS4_PT2_S4_PiS4_S7_S7_d21rocsparse_index_base_imNS_24const_host_device_scalarIfEENS9_IdEENS9_IS5_EEb
; %bb.0:
	s_add_u32 s6, s6, s9
	s_addc_u32 s7, s7, 0
	s_setreg_b32 hwreg(HW_REG_FLAT_SCR_LO), s6
	s_setreg_b32 hwreg(HW_REG_FLAT_SCR_HI), s7
	s_add_u32 s0, s0, s9
	s_clause 0x3
	s_load_dword s9, s[4:5], 0x80
	s_load_dwordx2 s[34:35], s[4:5], 0x50
	s_load_dwordx8 s[24:31], s[4:5], 0x58
	s_load_dwordx2 s[6:7], s[4:5], 0x78
	s_addc_u32 s1, s1, 0
	s_waitcnt lgkmcnt(0)
	s_bitcmp1_b32 s9, 0
	s_cselect_b32 s9, -1, 0
	s_cmp_eq_u32 s35, 0
	v_mov_b32_e32 v1, s31
	s_cselect_b32 s14, -1, 0
	s_cmp_lg_u32 s35, 0
	v_mov_b32_e32 v2, s30
	s_cselect_b32 s12, -1, 0
	s_or_b32 s15, s14, s9
	buffer_store_dword v1, off, s[0:3], 0 offset:4
	s_xor_b32 s13, s15, -1
	s_and_b32 s10, s14, exec_lo
	s_cselect_b32 s11, 0, s29
	s_cselect_b32 s10, 0, s28
	s_and_b32 vcc_lo, exec_lo, s15
	buffer_store_dword v2, off, s[0:3], 0
	s_cbranch_vccnz .LBB48_2
; %bb.1:
	s_load_dword s10, s[26:27], 0x0
	s_waitcnt lgkmcnt(0)
	v_mov_b32_e32 v25, s10
	s_mov_b64 s[10:11], s[28:29]
	v_mov_b32_e32 v16, s11
	v_mov_b32_e32 v15, s10
	s_andn2_b32 vcc_lo, exec_lo, s13
	s_cbranch_vccz .LBB48_3
	s_branch .LBB48_4
.LBB48_2:
	v_cndmask_b32_e64 v25, s26, 0, s14
	v_mov_b32_e32 v16, s11
	v_mov_b32_e32 v15, s10
	s_andn2_b32 vcc_lo, exec_lo, s13
	s_cbranch_vccnz .LBB48_4
.LBB48_3:
	v_mov_b32_e32 v1, s28
	v_mov_b32_e32 v2, s29
	flat_load_dwordx2 v[15:16], v[1:2]
.LBB48_4:
	v_mov_b32_e32 v3, 0
	v_mov_b32_e32 v1, 0
	v_cndmask_b32_e64 v26, 0, 1, s12
	v_mov_b32_e32 v4, 0
	v_mov_b32_e32 v2, 0
	s_andn2_b32 vcc_lo, exec_lo, s12
	s_cbranch_vccnz .LBB48_7
; %bb.5:
	s_mov_b64 s[10:11], src_private_base
	s_xor_b32 s10, s9, -1
	s_and_b32 s9, s9, exec_lo
	s_cselect_b32 s9, 0, s30
	s_cselect_b32 s11, s11, s31
	v_mov_b32_e32 v1, s9
	v_mov_b32_e32 v2, s11
	;; [unrolled: 1-line block ×4, first 2 shown]
	s_andn2_b32 vcc_lo, exec_lo, s10
	flat_load_dwordx2 v[1:2], v[1:2]
	s_cbranch_vccnz .LBB48_7
; %bb.6:
	v_mov_b32_e32 v3, s30
	v_mov_b32_e32 v4, s31
	flat_load_dwordx2 v[3:4], v[3:4] offset:8
.LBB48_7:
	v_lshrrev_b32_e32 v5, 6, v0
	v_and_b32_e32 v24, 63, v0
	s_mov_b32 s6, 0
	v_lshlrev_b32_e32 v7, 10, v5
	v_lshlrev_b32_e32 v8, 2, v24
	v_or_b32_e32 v6, 0xffffffc0, v24
	v_or3_b32 v7, v7, v8, 0x1000
	v_mov_b32_e32 v8, -1
.LBB48_8:                               ; =>This Inner Loop Header: Depth=1
	v_add_nc_u32_e32 v6, 64, v6
	ds_write_b32 v7, v8
	v_add_nc_u32_e32 v7, 0x100, v7
	v_cmp_lt_u32_e32 vcc_lo, 0xbf, v6
	s_or_b32 s6, vcc_lo, s6
	s_andn2_b32 exec_lo, exec_lo, s6
	s_cbranch_execnz .LBB48_8
; %bb.9:
	s_or_b32 exec_lo, exec_lo, s6
	s_load_dword s6, s[4:5], 0x0
	s_lshl_b32 s7, s8, 2
	s_waitcnt vmcnt(0) lgkmcnt(0)
	s_waitcnt_vscnt null, 0x0
	buffer_gl0_inv
	v_and_or_b32 v5, 0x3fffffc, s7, v5
	v_cmp_gt_i32_e32 vcc_lo, s6, v5
	s_and_saveexec_b32 s6, vcc_lo
	s_cbranch_execz .LBB48_87
; %bb.10:
	s_load_dwordx16 s[8:23], s[4:5], 0x8
	v_lshlrev_b32_e32 v5, 2, v5
	v_lshlrev_b32_e32 v0, 4, v0
	s_mov_b32 s6, exec_lo
	v_and_b32_e32 v0, 0xc00, v0
	v_or_b32_e32 v27, 0x1000, v0
	s_waitcnt lgkmcnt(0)
	global_load_dword v17, v5, s[18:19]
	s_waitcnt vmcnt(0)
	v_ashrrev_i32_e32 v18, 31, v17
	v_lshlrev_b64 v[13:14], 2, v[17:18]
	v_add_co_u32 v5, vcc_lo, s8, v13
	v_add_co_ci_u32_e64 v6, null, s9, v14, vcc_lo
	v_add_co_u32 v7, vcc_lo, s14, v13
	v_add_co_ci_u32_e64 v8, null, s15, v14, vcc_lo
	global_load_dwordx2 v[5:6], v[5:6], off
	global_load_dword v18, v[7:8], off
	s_waitcnt vmcnt(1)
	v_subrev_nc_u32_e32 v19, s34, v5
	v_subrev_nc_u32_e32 v7, s34, v6
	v_add_nc_u32_e32 v5, v19, v24
	v_cmpx_lt_i32_e64 v5, v7
	s_cbranch_execz .LBB48_33
; %bb.11:
	v_mov_b32_e32 v8, -1
	s_mov_b32 s7, 0
	s_branch .LBB48_13
.LBB48_12:                              ;   in Loop: Header=BB48_13 Depth=1
	s_or_b32 exec_lo, exec_lo, s18
	v_add_nc_u32_e32 v5, 64, v5
	v_cmp_ge_i32_e32 vcc_lo, v5, v7
	s_or_b32 s7, vcc_lo, s7
	s_andn2_b32 exec_lo, exec_lo, s7
	s_cbranch_execz .LBB48_33
.LBB48_13:                              ; =>This Loop Header: Depth=1
                                        ;     Child Loop BB48_22 Depth 2
	v_ashrrev_i32_e32 v6, 31, v5
	s_mov_b32 s18, 0
                                        ; implicit-def: $sgpr19
                                        ; implicit-def: $sgpr26
                                        ; implicit-def: $sgpr27
	v_lshlrev_b64 v[9:10], 2, v[5:6]
	v_add_co_u32 v9, vcc_lo, s10, v9
	v_add_co_ci_u32_e64 v10, null, s11, v10, vcc_lo
	global_load_dword v6, v[9:10], off
	v_mov_b32_e32 v9, 0x100
	s_waitcnt vmcnt(0)
	v_mul_lo_u32 v11, 0x67, v6
	s_branch .LBB48_22
.LBB48_14:                              ;   in Loop: Header=BB48_22 Depth=2
	s_or_b32 exec_lo, exec_lo, s39
	s_orn2_b32 s37, s37, exec_lo
	s_orn2_b32 s38, s38, exec_lo
.LBB48_15:                              ;   in Loop: Header=BB48_22 Depth=2
	s_or_b32 exec_lo, exec_lo, s36
	s_and_b32 s37, s37, exec_lo
	s_orn2_b32 s36, s38, exec_lo
.LBB48_16:                              ;   in Loop: Header=BB48_22 Depth=2
	s_or_b32 exec_lo, exec_lo, s35
	s_orn2_b32 s35, s37, exec_lo
	s_orn2_b32 s36, s36, exec_lo
.LBB48_17:                              ;   in Loop: Header=BB48_22 Depth=2
	s_or_b32 exec_lo, exec_lo, s33
	s_and_b32 s35, s35, exec_lo
	s_orn2_b32 s33, s36, exec_lo
.LBB48_18:                              ;   in Loop: Header=BB48_22 Depth=2
	s_or_b32 exec_lo, exec_lo, s31
	s_orn2_b32 s31, s35, exec_lo
	s_orn2_b32 s33, s33, exec_lo
.LBB48_19:                              ;   in Loop: Header=BB48_22 Depth=2
	s_or_b32 exec_lo, exec_lo, s30
	s_and_b32 s31, s31, exec_lo
	s_orn2_b32 s30, s33, exec_lo
.LBB48_20:                              ;   in Loop: Header=BB48_22 Depth=2
	s_or_b32 exec_lo, exec_lo, s29
	s_andn2_b32 s27, s27, exec_lo
	s_and_b32 s29, s31, exec_lo
	s_andn2_b32 s26, s26, exec_lo
	s_and_b32 s30, s30, exec_lo
	s_or_b32 s27, s27, s29
	s_or_b32 s26, s26, s30
.LBB48_21:                              ;   in Loop: Header=BB48_22 Depth=2
	s_or_b32 exec_lo, exec_lo, s28
	s_and_b32 s28, exec_lo, s26
	s_or_b32 s18, s28, s18
	s_andn2_b32 s19, s19, exec_lo
	s_and_b32 s28, s27, exec_lo
	s_or_b32 s19, s19, s28
	s_andn2_b32 exec_lo, exec_lo, s18
	s_cbranch_execz .LBB48_31
.LBB48_22:                              ;   Parent Loop BB48_13 Depth=1
                                        ; =>  This Inner Loop Header: Depth=2
	v_and_b32_e32 v10, 0xff, v11
	s_or_b32 s27, s27, exec_lo
	s_or_b32 s26, s26, exec_lo
	s_mov_b32 s28, exec_lo
	v_lshl_add_u32 v12, v10, 2, v27
	ds_read_b32 v20, v12
	s_waitcnt lgkmcnt(0)
	v_cmpx_ne_u32_e64 v20, v6
	s_cbranch_execz .LBB48_21
; %bb.23:                               ;   in Loop: Header=BB48_22 Depth=2
	ds_cmpst_rtn_b32 v12, v12, v8, v6
	s_mov_b32 s30, -1
	s_mov_b32 s31, 0
	s_mov_b32 s29, exec_lo
	s_waitcnt lgkmcnt(0)
	v_cmpx_ne_u32_e32 -1, v12
	s_cbranch_execz .LBB48_20
; %bb.24:                               ;   in Loop: Header=BB48_22 Depth=2
	v_add_nc_u32_e32 v10, 1, v11
	s_mov_b32 s33, -1
	s_mov_b32 s31, -1
	s_mov_b32 s30, exec_lo
	v_and_b32_e32 v10, 0xff, v10
	v_lshl_add_u32 v12, v10, 2, v27
	ds_read_b32 v20, v12
	s_waitcnt lgkmcnt(0)
	v_cmpx_ne_u32_e64 v20, v6
	s_cbranch_execz .LBB48_19
; %bb.25:                               ;   in Loop: Header=BB48_22 Depth=2
	ds_cmpst_rtn_b32 v12, v12, v8, v6
	s_mov_b32 s35, 0
	s_mov_b32 s31, exec_lo
	s_waitcnt lgkmcnt(0)
	v_cmpx_ne_u32_e32 -1, v12
	s_cbranch_execz .LBB48_18
; %bb.26:                               ;   in Loop: Header=BB48_22 Depth=2
	v_add_nc_u32_e32 v10, 2, v11
	s_mov_b32 s36, -1
	s_mov_b32 s35, -1
	s_mov_b32 s33, exec_lo
	v_and_b32_e32 v10, 0xff, v10
	v_lshl_add_u32 v12, v10, 2, v27
	ds_read_b32 v20, v12
	s_waitcnt lgkmcnt(0)
	v_cmpx_ne_u32_e64 v20, v6
	s_cbranch_execz .LBB48_17
; %bb.27:                               ;   in Loop: Header=BB48_22 Depth=2
	ds_cmpst_rtn_b32 v12, v12, v8, v6
	s_mov_b32 s37, 0
	s_mov_b32 s35, exec_lo
	s_waitcnt lgkmcnt(0)
	v_cmpx_ne_u32_e32 -1, v12
	s_cbranch_execz .LBB48_16
; %bb.28:                               ;   in Loop: Header=BB48_22 Depth=2
	v_add_nc_u32_e32 v10, 3, v11
	s_mov_b32 s38, -1
	s_mov_b32 s37, -1
	v_and_b32_e32 v10, 0xff, v10
	v_lshl_add_u32 v12, v10, 2, v27
	ds_read_b32 v11, v12
	s_waitcnt lgkmcnt(0)
	v_cmp_ne_u32_e32 vcc_lo, v11, v6
                                        ; implicit-def: $vgpr11
	s_and_saveexec_b32 s36, vcc_lo
	s_cbranch_execz .LBB48_15
; %bb.29:                               ;   in Loop: Header=BB48_22 Depth=2
	ds_cmpst_rtn_b32 v11, v12, v8, v6
	s_mov_b32 s37, 0
	s_waitcnt lgkmcnt(0)
	v_cmp_ne_u32_e32 vcc_lo, -1, v11
                                        ; implicit-def: $vgpr11
	s_and_saveexec_b32 s39, vcc_lo
	s_cbranch_execz .LBB48_14
; %bb.30:                               ;   in Loop: Header=BB48_22 Depth=2
	v_add_nc_u32_e32 v9, -4, v9
	v_add_nc_u32_e32 v11, 1, v10
	s_mov_b32 s37, exec_lo
	v_cmp_eq_u32_e32 vcc_lo, 0, v9
	s_orn2_b32 s38, vcc_lo, exec_lo
	s_branch .LBB48_14
.LBB48_31:                              ;   in Loop: Header=BB48_13 Depth=1
	s_or_b32 exec_lo, exec_lo, s18
	s_xor_b32 s18, s19, -1
	s_and_saveexec_b32 s19, s18
	s_xor_b32 s18, exec_lo, s19
	s_cbranch_execz .LBB48_12
; %bb.32:                               ;   in Loop: Header=BB48_13 Depth=1
	v_lshl_add_u32 v6, v10, 2, v0
	ds_write_b32 v6, v5
	s_branch .LBB48_12
.LBB48_33:
	s_or_b32 exec_lo, exec_lo, s6
	s_mov_b32 s7, exec_lo
	s_waitcnt vmcnt(0) lgkmcnt(0)
	buffer_gl0_inv
	v_cmpx_lt_i32_e64 v19, v18
	s_cbranch_execz .LBB48_63
; %bb.34:
	v_add_nc_u32_e32 v28, 1, v24
	s_mov_b32 s18, 0
	s_branch .LBB48_37
.LBB48_35:                              ;   in Loop: Header=BB48_37 Depth=1
	s_or_b32 exec_lo, exec_lo, s19
	v_add_nc_u32_e32 v19, 1, v19
	v_cmp_ge_i32_e32 vcc_lo, v19, v18
	s_orn2_b32 s19, vcc_lo, exec_lo
.LBB48_36:                              ;   in Loop: Header=BB48_37 Depth=1
	s_or_b32 exec_lo, exec_lo, s6
	s_and_b32 s6, exec_lo, s19
	s_or_b32 s18, s6, s18
	s_andn2_b32 exec_lo, exec_lo, s18
	s_cbranch_execz .LBB48_63
.LBB48_37:                              ; =>This Loop Header: Depth=1
                                        ;     Child Loop BB48_38 Depth 2
                                        ;     Child Loop BB48_43 Depth 2
                                        ;       Child Loop BB48_52 Depth 3
	v_ashrrev_i32_e32 v20, 31, v19
	s_mov_b32 s6, 0
	v_lshlrev_b64 v[5:6], 2, v[19:20]
	v_lshlrev_b64 v[7:8], 4, v[19:20]
	v_add_co_u32 v5, vcc_lo, s10, v5
	v_add_co_ci_u32_e64 v6, null, s11, v6, vcc_lo
	v_add_co_u32 v20, vcc_lo, s12, v7
	v_add_co_ci_u32_e64 v21, null, s13, v8, vcc_lo
	global_load_dword v5, v[5:6], off
	s_waitcnt vmcnt(0)
	v_subrev_nc_u32_e32 v5, s34, v5
	v_ashrrev_i32_e32 v6, 31, v5
	v_lshlrev_b64 v[9:10], 2, v[5:6]
	v_add_co_u32 v11, vcc_lo, s8, v9
	v_add_co_ci_u32_e64 v12, null, s9, v10, vcc_lo
	v_add_co_u32 v22, vcc_lo, s14, v9
	v_add_co_ci_u32_e64 v23, null, s15, v10, vcc_lo
	global_load_dwordx4 v[5:8], v[20:21], off
	global_load_dword v11, v[11:12], off offset:4
	global_load_dword v12, v[22:23], off
	v_add_co_u32 v9, vcc_lo, s16, v9
	v_add_co_ci_u32_e64 v10, null, s17, v10, vcc_lo
.LBB48_38:                              ;   Parent Loop BB48_37 Depth=1
                                        ; =>  This Inner Loop Header: Depth=2
	global_load_dword v22, v[9:10], off glc dlc
	s_waitcnt vmcnt(0)
	v_cmp_ne_u32_e32 vcc_lo, 0, v22
	s_or_b32 s6, vcc_lo, s6
	s_andn2_b32 exec_lo, exec_lo, s6
	s_cbranch_execnz .LBB48_38
; %bb.39:                               ;   in Loop: Header=BB48_37 Depth=1
	s_or_b32 exec_lo, exec_lo, s6
	v_subrev_nc_u32_e32 v29, s34, v11
	v_cmp_eq_u32_e32 vcc_lo, -1, v12
	buffer_gl1_inv
	buffer_gl0_inv
	s_mov_b32 s19, -1
	v_add_nc_u32_e32 v9, -1, v29
	v_cndmask_b32_e32 v22, v12, v9, vcc_lo
	v_ashrrev_i32_e32 v23, 31, v22
	v_lshlrev_b64 v[9:10], 4, v[22:23]
	v_add_co_u32 v9, vcc_lo, s12, v9
	v_add_co_ci_u32_e64 v10, null, s13, v10, vcc_lo
	global_load_dwordx4 v[9:12], v[9:10], off
	s_waitcnt vmcnt(0)
	v_cmp_neq_f64_e32 vcc_lo, 0, v[9:10]
	v_cmp_neq_f64_e64 s6, 0, v[11:12]
	s_or_b32 s26, vcc_lo, s6
	s_and_saveexec_b32 s6, s26
	s_cbranch_execz .LBB48_36
; %bb.40:                               ;   in Loop: Header=BB48_37 Depth=1
	v_mul_f64 v[30:31], v[11:12], v[11:12]
	s_mov_b32 s19, exec_lo
	v_fma_f64 v[30:31], v[9:10], v[9:10], v[30:31]
	v_div_scale_f64 v[32:33], null, v[30:31], v[30:31], 1.0
	v_div_scale_f64 v[38:39], vcc_lo, 1.0, v[30:31], 1.0
	v_rcp_f64_e32 v[34:35], v[32:33]
	v_fma_f64 v[36:37], -v[32:33], v[34:35], 1.0
	v_fma_f64 v[34:35], v[34:35], v[36:37], v[34:35]
	v_fma_f64 v[36:37], -v[32:33], v[34:35], 1.0
	v_fma_f64 v[34:35], v[34:35], v[36:37], v[34:35]
	v_mul_f64 v[36:37], v[38:39], v[34:35]
	v_fma_f64 v[32:33], -v[32:33], v[36:37], v[38:39]
	v_mul_f64 v[38:39], v[7:8], v[11:12]
	v_mul_f64 v[11:12], v[11:12], -v[5:6]
	v_div_fmas_f64 v[32:33], v[32:33], v[34:35], v[36:37]
	v_fma_f64 v[5:6], v[5:6], v[9:10], v[38:39]
	v_fma_f64 v[7:8], v[7:8], v[9:10], v[11:12]
	v_add_nc_u32_e32 v9, v28, v22
	v_div_fixup_f64 v[30:31], v[32:33], v[30:31], 1.0
	v_mul_f64 v[5:6], v[5:6], v[30:31]
	v_mul_f64 v[7:8], v[7:8], v[30:31]
	global_store_dwordx4 v[20:21], v[5:8], off
	v_cmpx_lt_i32_e64 v9, v29
	s_cbranch_execz .LBB48_35
; %bb.41:                               ;   in Loop: Header=BB48_37 Depth=1
	s_mov_b32 s26, 0
	s_branch .LBB48_43
.LBB48_42:                              ;   in Loop: Header=BB48_43 Depth=2
	s_or_b32 exec_lo, exec_lo, s27
	v_add_nc_u32_e32 v9, 64, v9
	v_cmp_ge_i32_e32 vcc_lo, v9, v29
	s_or_b32 s26, vcc_lo, s26
	s_andn2_b32 exec_lo, exec_lo, s26
	s_cbranch_execz .LBB48_35
.LBB48_43:                              ;   Parent Loop BB48_37 Depth=1
                                        ; =>  This Loop Header: Depth=2
                                        ;       Child Loop BB48_52 Depth 3
	v_ashrrev_i32_e32 v10, 31, v9
	s_mov_b32 s27, 0
                                        ; implicit-def: $sgpr28
                                        ; implicit-def: $sgpr29
                                        ; implicit-def: $sgpr30
	v_lshlrev_b64 v[11:12], 2, v[9:10]
	v_add_co_u32 v11, vcc_lo, s10, v11
	v_add_co_ci_u32_e64 v12, null, s11, v12, vcc_lo
	global_load_dword v11, v[11:12], off
	v_mov_b32_e32 v12, 0x100
	s_waitcnt vmcnt(0)
	v_mul_lo_u32 v21, 0x67, v11
	s_branch .LBB48_52
.LBB48_44:                              ;   in Loop: Header=BB48_52 Depth=3
	s_or_b32 exec_lo, exec_lo, s42
	s_orn2_b32 s40, s40, exec_lo
	s_orn2_b32 s41, s41, exec_lo
.LBB48_45:                              ;   in Loop: Header=BB48_52 Depth=3
	s_or_b32 exec_lo, exec_lo, s39
	s_and_b32 s40, s40, exec_lo
	s_orn2_b32 s39, s41, exec_lo
.LBB48_46:                              ;   in Loop: Header=BB48_52 Depth=3
	s_or_b32 exec_lo, exec_lo, s38
	s_orn2_b32 s38, s40, exec_lo
	s_orn2_b32 s39, s39, exec_lo
.LBB48_47:                              ;   in Loop: Header=BB48_52 Depth=3
	s_or_b32 exec_lo, exec_lo, s37
	s_and_b32 s38, s38, exec_lo
	s_orn2_b32 s37, s39, exec_lo
.LBB48_48:                              ;   in Loop: Header=BB48_52 Depth=3
	s_or_b32 exec_lo, exec_lo, s36
	s_orn2_b32 s36, s38, exec_lo
	s_orn2_b32 s37, s37, exec_lo
.LBB48_49:                              ;   in Loop: Header=BB48_52 Depth=3
	s_or_b32 exec_lo, exec_lo, s35
	s_and_b32 s36, s36, exec_lo
	s_orn2_b32 s35, s37, exec_lo
.LBB48_50:                              ;   in Loop: Header=BB48_52 Depth=3
	s_or_b32 exec_lo, exec_lo, s33
	s_andn2_b32 s30, s30, exec_lo
	s_and_b32 s33, s36, exec_lo
	s_andn2_b32 s29, s29, exec_lo
	s_and_b32 s35, s35, exec_lo
	s_or_b32 s30, s30, s33
	s_or_b32 s29, s29, s35
.LBB48_51:                              ;   in Loop: Header=BB48_52 Depth=3
	s_or_b32 exec_lo, exec_lo, s31
	s_and_b32 s31, exec_lo, s29
	s_or_b32 s27, s31, s27
	s_andn2_b32 s28, s28, exec_lo
	s_and_b32 s31, s30, exec_lo
	s_or_b32 s28, s28, s31
	s_andn2_b32 exec_lo, exec_lo, s27
	s_cbranch_execz .LBB48_61
.LBB48_52:                              ;   Parent Loop BB48_37 Depth=1
                                        ;     Parent Loop BB48_43 Depth=2
                                        ; =>    This Inner Loop Header: Depth=3
	v_and_b32_e32 v20, 0xff, v21
	s_or_b32 s30, s30, exec_lo
	s_or_b32 s29, s29, exec_lo
	s_mov_b32 s31, exec_lo
	v_lshl_add_u32 v22, v20, 2, v27
	ds_read_b32 v22, v22
	s_waitcnt lgkmcnt(0)
	v_cmpx_ne_u32_e32 -1, v22
	s_cbranch_execz .LBB48_51
; %bb.53:                               ;   in Loop: Header=BB48_52 Depth=3
	s_mov_b32 s35, -1
	s_mov_b32 s36, 0
	s_mov_b32 s33, exec_lo
	v_cmpx_ne_u32_e64 v22, v11
	s_cbranch_execz .LBB48_50
; %bb.54:                               ;   in Loop: Header=BB48_52 Depth=3
	v_add_nc_u32_e32 v20, 1, v21
	s_mov_b32 s37, -1
	s_mov_b32 s36, -1
	s_mov_b32 s35, exec_lo
	v_and_b32_e32 v20, 0xff, v20
	v_lshl_add_u32 v22, v20, 2, v27
	ds_read_b32 v22, v22
	s_waitcnt lgkmcnt(0)
	v_cmpx_ne_u32_e32 -1, v22
	s_cbranch_execz .LBB48_49
; %bb.55:                               ;   in Loop: Header=BB48_52 Depth=3
	s_mov_b32 s38, 0
	s_mov_b32 s36, exec_lo
	v_cmpx_ne_u32_e64 v22, v11
	s_cbranch_execz .LBB48_48
; %bb.56:                               ;   in Loop: Header=BB48_52 Depth=3
	v_add_nc_u32_e32 v20, 2, v21
	s_mov_b32 s39, -1
	s_mov_b32 s38, -1
	s_mov_b32 s37, exec_lo
	v_and_b32_e32 v20, 0xff, v20
	v_lshl_add_u32 v22, v20, 2, v27
	ds_read_b32 v22, v22
	s_waitcnt lgkmcnt(0)
	v_cmpx_ne_u32_e32 -1, v22
	s_cbranch_execz .LBB48_47
; %bb.57:                               ;   in Loop: Header=BB48_52 Depth=3
	s_mov_b32 s40, 0
	s_mov_b32 s38, exec_lo
	v_cmpx_ne_u32_e64 v22, v11
	s_cbranch_execz .LBB48_46
; %bb.58:                               ;   in Loop: Header=BB48_52 Depth=3
	v_add_nc_u32_e32 v20, 3, v21
	s_mov_b32 s41, -1
	s_mov_b32 s40, -1
	s_mov_b32 s39, exec_lo
	v_and_b32_e32 v20, 0xff, v20
	v_lshl_add_u32 v21, v20, 2, v27
	ds_read_b32 v22, v21
                                        ; implicit-def: $vgpr21
	s_waitcnt lgkmcnt(0)
	v_cmpx_ne_u32_e32 -1, v22
	s_cbranch_execz .LBB48_45
; %bb.59:                               ;   in Loop: Header=BB48_52 Depth=3
	s_mov_b32 s40, 0
	s_mov_b32 s42, exec_lo
                                        ; implicit-def: $vgpr21
	v_cmpx_ne_u32_e64 v22, v11
	s_cbranch_execz .LBB48_44
; %bb.60:                               ;   in Loop: Header=BB48_52 Depth=3
	v_add_nc_u32_e32 v12, -4, v12
	v_add_nc_u32_e32 v21, 1, v20
	s_mov_b32 s40, exec_lo
	v_cmp_eq_u32_e32 vcc_lo, 0, v12
	s_orn2_b32 s41, vcc_lo, exec_lo
	s_branch .LBB48_44
.LBB48_61:                              ;   in Loop: Header=BB48_43 Depth=2
	s_or_b32 exec_lo, exec_lo, s27
	s_xor_b32 s27, s28, -1
	s_and_saveexec_b32 s28, s27
	s_xor_b32 s27, exec_lo, s28
	s_cbranch_execz .LBB48_42
; %bb.62:                               ;   in Loop: Header=BB48_43 Depth=2
	v_lshl_add_u32 v11, v20, 2, v0
	v_lshlrev_b64 v[20:21], 4, v[9:10]
	ds_read_b32 v11, v11
	v_add_co_u32 v20, vcc_lo, s12, v20
	v_add_co_ci_u32_e64 v21, null, s13, v21, vcc_lo
	s_waitcnt lgkmcnt(0)
	v_ashrrev_i32_e32 v12, 31, v11
	v_lshlrev_b64 v[10:11], 4, v[11:12]
	v_add_co_u32 v10, vcc_lo, s12, v10
	v_add_co_ci_u32_e64 v11, null, s13, v11, vcc_lo
	s_clause 0x1
	global_load_dwordx4 v[20:23], v[20:21], off
	global_load_dwordx4 v[30:33], v[10:11], off
	s_waitcnt vmcnt(0)
	v_fma_f64 v[30:31], -v[5:6], v[20:21], v[30:31]
	v_fma_f64 v[32:33], -v[7:8], v[20:21], v[32:33]
	v_fma_f64 v[20:21], v[7:8], v[22:23], v[30:31]
	v_fma_f64 v[22:23], -v[5:6], v[22:23], v[32:33]
	global_store_dwordx4 v[10:11], v[20:23], off
	s_branch .LBB48_42
.LBB48_63:
	s_or_b32 exec_lo, exec_lo, s7
	s_mov_b32 s7, exec_lo
	s_waitcnt_vscnt null, 0x0
	buffer_gl0_inv
	v_cmpx_lt_i32_e32 -1, v18
	s_cbranch_execz .LBB48_85
; %bb.64:
	v_mov_b32_e32 v19, 0
	s_mov_b32 s6, exec_lo
	v_lshlrev_b64 v[5:6], 4, v[18:19]
	v_add_co_u32 v9, vcc_lo, s12, v5
	v_add_co_ci_u32_e64 v10, null, s13, v6, vcc_lo
	global_load_dwordx4 v[5:8], v[9:10], off
	s_waitcnt vmcnt(0)
	v_cmp_gt_f64_e32 vcc_lo, 0, v[5:6]
	v_xor_b32_e32 v0, 0x80000000, v6
	v_xor_b32_e32 v18, 0x80000000, v8
	v_mov_b32_e32 v11, v5
	v_mov_b32_e32 v20, v7
	v_cndmask_b32_e32 v12, v6, v0, vcc_lo
	v_cmp_gt_f64_e32 vcc_lo, 0, v[7:8]
	v_cndmask_b32_e32 v21, v8, v18, vcc_lo
                                        ; implicit-def: $vgpr18_vgpr19
	v_cmpx_ngt_f64_e32 v[11:12], v[20:21]
	s_xor_b32 s6, exec_lo, s6
	s_cbranch_execz .LBB48_68
; %bb.65:
	v_mov_b32_e32 v18, 0
	v_mov_b32_e32 v19, 0
	s_mov_b32 s8, exec_lo
	v_cmpx_neq_f64_e32 0, v[7:8]
	s_cbranch_execz .LBB48_67
; %bb.66:
	v_div_scale_f64 v[18:19], null, v[20:21], v[20:21], v[11:12]
	v_div_scale_f64 v[29:30], vcc_lo, v[11:12], v[20:21], v[11:12]
	v_rcp_f64_e32 v[22:23], v[18:19]
	v_fma_f64 v[27:28], -v[18:19], v[22:23], 1.0
	v_fma_f64 v[22:23], v[22:23], v[27:28], v[22:23]
	v_fma_f64 v[27:28], -v[18:19], v[22:23], 1.0
	v_fma_f64 v[22:23], v[22:23], v[27:28], v[22:23]
	v_mul_f64 v[27:28], v[29:30], v[22:23]
	v_fma_f64 v[18:19], -v[18:19], v[27:28], v[29:30]
	v_div_fmas_f64 v[18:19], v[18:19], v[22:23], v[27:28]
	v_div_fixup_f64 v[11:12], v[18:19], v[20:21], v[11:12]
	v_fma_f64 v[11:12], v[11:12], v[11:12], 1.0
	v_cmp_gt_f64_e32 vcc_lo, 0x10000000, v[11:12]
	v_cndmask_b32_e64 v0, 0, 0x100, vcc_lo
	v_ldexp_f64 v[11:12], v[11:12], v0
	v_cndmask_b32_e64 v0, 0, 0xffffff80, vcc_lo
	v_rsq_f64_e32 v[18:19], v[11:12]
	v_cmp_class_f64_e64 vcc_lo, v[11:12], 0x260
	v_mul_f64 v[22:23], v[11:12], v[18:19]
	v_mul_f64 v[18:19], v[18:19], 0.5
	v_fma_f64 v[27:28], -v[18:19], v[22:23], 0.5
	v_fma_f64 v[22:23], v[22:23], v[27:28], v[22:23]
	v_fma_f64 v[18:19], v[18:19], v[27:28], v[18:19]
	v_fma_f64 v[27:28], -v[22:23], v[22:23], v[11:12]
	v_fma_f64 v[22:23], v[27:28], v[18:19], v[22:23]
	v_fma_f64 v[27:28], -v[22:23], v[22:23], v[11:12]
	v_fma_f64 v[18:19], v[27:28], v[18:19], v[22:23]
	v_ldexp_f64 v[18:19], v[18:19], v0
	v_cndmask_b32_e32 v12, v19, v12, vcc_lo
	v_cndmask_b32_e32 v11, v18, v11, vcc_lo
	v_mul_f64 v[18:19], v[20:21], v[11:12]
.LBB48_67:
	s_or_b32 exec_lo, exec_lo, s8
                                        ; implicit-def: $vgpr11_vgpr12
                                        ; implicit-def: $vgpr20_vgpr21
.LBB48_68:
	s_andn2_saveexec_b32 s6, s6
	s_cbranch_execz .LBB48_70
; %bb.69:
	v_div_scale_f64 v[18:19], null, v[11:12], v[11:12], v[20:21]
	v_div_scale_f64 v[29:30], vcc_lo, v[20:21], v[11:12], v[20:21]
	v_rcp_f64_e32 v[22:23], v[18:19]
	v_fma_f64 v[27:28], -v[18:19], v[22:23], 1.0
	v_fma_f64 v[22:23], v[22:23], v[27:28], v[22:23]
	v_fma_f64 v[27:28], -v[18:19], v[22:23], 1.0
	v_fma_f64 v[22:23], v[22:23], v[27:28], v[22:23]
	v_mul_f64 v[27:28], v[29:30], v[22:23]
	v_fma_f64 v[18:19], -v[18:19], v[27:28], v[29:30]
	v_div_fmas_f64 v[18:19], v[18:19], v[22:23], v[27:28]
	v_div_fixup_f64 v[18:19], v[18:19], v[11:12], v[20:21]
	v_fma_f64 v[18:19], v[18:19], v[18:19], 1.0
	v_cmp_gt_f64_e32 vcc_lo, 0x10000000, v[18:19]
	v_cndmask_b32_e64 v0, 0, 0x100, vcc_lo
	v_ldexp_f64 v[18:19], v[18:19], v0
	v_cndmask_b32_e64 v0, 0, 0xffffff80, vcc_lo
	v_rsq_f64_e32 v[20:21], v[18:19]
	v_cmp_class_f64_e64 vcc_lo, v[18:19], 0x260
	v_mul_f64 v[22:23], v[18:19], v[20:21]
	v_mul_f64 v[20:21], v[20:21], 0.5
	v_fma_f64 v[27:28], -v[20:21], v[22:23], 0.5
	v_fma_f64 v[22:23], v[22:23], v[27:28], v[22:23]
	v_fma_f64 v[20:21], v[20:21], v[27:28], v[20:21]
	v_fma_f64 v[27:28], -v[22:23], v[22:23], v[18:19]
	v_fma_f64 v[22:23], v[27:28], v[20:21], v[22:23]
	v_fma_f64 v[27:28], -v[22:23], v[22:23], v[18:19]
	v_fma_f64 v[20:21], v[27:28], v[20:21], v[22:23]
	v_ldexp_f64 v[20:21], v[20:21], v0
	v_cndmask_b32_e32 v19, v21, v19, vcc_lo
	v_cndmask_b32_e32 v18, v20, v18, vcc_lo
	v_mul_f64 v[18:19], v[11:12], v[18:19]
.LBB48_70:
	s_or_b32 exec_lo, exec_lo, s6
	v_cmp_ne_u32_e32 vcc_lo, 1, v26
	v_cmp_eq_u32_e64 s6, 0, v24
	s_mov_b32 s8, -1
	s_cbranch_vccnz .LBB48_74
; %bb.71:
	v_cvt_f64_f32_e32 v[11:12], v25
	s_cmp_eq_u64 s[24:25], 8
	s_cselect_b32 vcc_lo, -1, 0
	v_cndmask_b32_e32 v12, v12, v16, vcc_lo
	v_cndmask_b32_e32 v11, v11, v15, vcc_lo
	v_cmp_le_f64_e32 vcc_lo, v[18:19], v[11:12]
	s_and_b32 s9, s6, vcc_lo
	s_and_saveexec_b32 s8, s9
	s_cbranch_execz .LBB48_73
; %bb.72:
	global_store_dwordx4 v[9:10], v[1:4], off
	s_waitcnt_vscnt null, 0x0
	buffer_gl1_inv
	buffer_gl0_inv
.LBB48_73:
	s_or_b32 exec_lo, exec_lo, s8
	s_mov_b32 s8, 0
.LBB48_74:
	s_andn2_b32 vcc_lo, exec_lo, s8
	s_cbranch_vccnz .LBB48_85
; %bb.75:
	s_load_dwordx2 s[4:5], s[4:5], 0x48
	v_add_nc_u32_e32 v0, s34, v17
	s_waitcnt lgkmcnt(0)
	v_cmp_ge_f64_e32 vcc_lo, s[4:5], v[18:19]
	s_and_b32 s5, s6, vcc_lo
	s_and_saveexec_b32 s4, s5
	s_cbranch_execz .LBB48_80
; %bb.76:
	s_mov_b32 s8, exec_lo
	s_brev_b32 s5, -2
.LBB48_77:                              ; =>This Inner Loop Header: Depth=1
	s_ff1_i32_b32 s9, s8
	v_readlane_b32 s10, v0, s9
	s_lshl_b32 s9, 1, s9
	s_andn2_b32 s8, s8, s9
	s_min_i32 s5, s5, s10
	s_cmp_lg_u32 s8, 0
	s_cbranch_scc1 .LBB48_77
; %bb.78:
	v_mbcnt_lo_u32_b32 v1, exec_lo, 0
	s_mov_b32 s8, exec_lo
	v_cmpx_eq_u32_e32 0, v1
	s_xor_b32 s8, exec_lo, s8
	s_cbranch_execz .LBB48_80
; %bb.79:
	v_mov_b32_e32 v1, 0
	v_mov_b32_e32 v2, s5
	global_atomic_smin v1, v2, s[22:23]
.LBB48_80:
	s_or_b32 exec_lo, exec_lo, s4
	v_cmp_eq_f64_e32 vcc_lo, 0, v[5:6]
	v_cmp_eq_f64_e64 s4, 0, v[7:8]
	s_and_b32 s4, vcc_lo, s4
	s_and_b32 s4, s6, s4
	s_and_b32 exec_lo, exec_lo, s4
	s_cbranch_execz .LBB48_85
; %bb.81:
	s_mov_b32 s5, exec_lo
	s_brev_b32 s4, -2
.LBB48_82:                              ; =>This Inner Loop Header: Depth=1
	s_ff1_i32_b32 s6, s5
	v_readlane_b32 s8, v0, s6
	s_lshl_b32 s6, 1, s6
	s_andn2_b32 s5, s5, s6
	s_min_i32 s4, s4, s8
	s_cmp_lg_u32 s5, 0
	s_cbranch_scc1 .LBB48_82
; %bb.83:
	v_mbcnt_lo_u32_b32 v0, exec_lo, 0
	s_mov_b32 s5, exec_lo
	v_cmpx_eq_u32_e32 0, v0
	s_xor_b32 s5, exec_lo, s5
	s_cbranch_execz .LBB48_85
; %bb.84:
	v_mov_b32_e32 v0, 0
	v_mov_b32_e32 v1, s4
	global_atomic_smin v0, v1, s[20:21]
.LBB48_85:
	s_or_b32 exec_lo, exec_lo, s7
	v_cmp_eq_u32_e32 vcc_lo, 0, v24
	s_waitcnt_vscnt null, 0x0
	buffer_gl1_inv
	buffer_gl0_inv
	s_and_b32 exec_lo, exec_lo, vcc_lo
	s_cbranch_execz .LBB48_87
; %bb.86:
	v_add_co_u32 v0, vcc_lo, s16, v13
	v_add_co_ci_u32_e64 v1, null, s17, v14, vcc_lo
	v_mov_b32_e32 v2, 1
	global_store_dword v[0:1], v2, off
.LBB48_87:
	s_endpgm
	.section	.rodata,"a",@progbits
	.p2align	6, 0x0
	.amdhsa_kernel _ZN9rocsparseL12csrilu0_hashILj256ELj64ELj4E21rocsparse_complex_numIdEEEviPKiS4_PT2_S4_PiS4_S7_S7_d21rocsparse_index_base_imNS_24const_host_device_scalarIfEENS9_IdEENS9_IS5_EEb
		.amdhsa_group_segment_fixed_size 8192
		.amdhsa_private_segment_fixed_size 16
		.amdhsa_kernarg_size 132
		.amdhsa_user_sgpr_count 8
		.amdhsa_user_sgpr_private_segment_buffer 1
		.amdhsa_user_sgpr_dispatch_ptr 0
		.amdhsa_user_sgpr_queue_ptr 0
		.amdhsa_user_sgpr_kernarg_segment_ptr 1
		.amdhsa_user_sgpr_dispatch_id 0
		.amdhsa_user_sgpr_flat_scratch_init 1
		.amdhsa_user_sgpr_private_segment_size 0
		.amdhsa_wavefront_size32 1
		.amdhsa_uses_dynamic_stack 0
		.amdhsa_system_sgpr_private_segment_wavefront_offset 1
		.amdhsa_system_sgpr_workgroup_id_x 1
		.amdhsa_system_sgpr_workgroup_id_y 0
		.amdhsa_system_sgpr_workgroup_id_z 0
		.amdhsa_system_sgpr_workgroup_info 0
		.amdhsa_system_vgpr_workitem_id 0
		.amdhsa_next_free_vgpr 40
		.amdhsa_next_free_sgpr 43
		.amdhsa_reserve_vcc 1
		.amdhsa_reserve_flat_scratch 1
		.amdhsa_float_round_mode_32 0
		.amdhsa_float_round_mode_16_64 0
		.amdhsa_float_denorm_mode_32 3
		.amdhsa_float_denorm_mode_16_64 3
		.amdhsa_dx10_clamp 1
		.amdhsa_ieee_mode 1
		.amdhsa_fp16_overflow 0
		.amdhsa_workgroup_processor_mode 1
		.amdhsa_memory_ordered 1
		.amdhsa_forward_progress 1
		.amdhsa_shared_vgpr_count 0
		.amdhsa_exception_fp_ieee_invalid_op 0
		.amdhsa_exception_fp_denorm_src 0
		.amdhsa_exception_fp_ieee_div_zero 0
		.amdhsa_exception_fp_ieee_overflow 0
		.amdhsa_exception_fp_ieee_underflow 0
		.amdhsa_exception_fp_ieee_inexact 0
		.amdhsa_exception_int_div_zero 0
	.end_amdhsa_kernel
	.section	.text._ZN9rocsparseL12csrilu0_hashILj256ELj64ELj4E21rocsparse_complex_numIdEEEviPKiS4_PT2_S4_PiS4_S7_S7_d21rocsparse_index_base_imNS_24const_host_device_scalarIfEENS9_IdEENS9_IS5_EEb,"axG",@progbits,_ZN9rocsparseL12csrilu0_hashILj256ELj64ELj4E21rocsparse_complex_numIdEEEviPKiS4_PT2_S4_PiS4_S7_S7_d21rocsparse_index_base_imNS_24const_host_device_scalarIfEENS9_IdEENS9_IS5_EEb,comdat
.Lfunc_end48:
	.size	_ZN9rocsparseL12csrilu0_hashILj256ELj64ELj4E21rocsparse_complex_numIdEEEviPKiS4_PT2_S4_PiS4_S7_S7_d21rocsparse_index_base_imNS_24const_host_device_scalarIfEENS9_IdEENS9_IS5_EEb, .Lfunc_end48-_ZN9rocsparseL12csrilu0_hashILj256ELj64ELj4E21rocsparse_complex_numIdEEEviPKiS4_PT2_S4_PiS4_S7_S7_d21rocsparse_index_base_imNS_24const_host_device_scalarIfEENS9_IdEENS9_IS5_EEb
                                        ; -- End function
	.set _ZN9rocsparseL12csrilu0_hashILj256ELj64ELj4E21rocsparse_complex_numIdEEEviPKiS4_PT2_S4_PiS4_S7_S7_d21rocsparse_index_base_imNS_24const_host_device_scalarIfEENS9_IdEENS9_IS5_EEb.num_vgpr, 40
	.set _ZN9rocsparseL12csrilu0_hashILj256ELj64ELj4E21rocsparse_complex_numIdEEEviPKiS4_PT2_S4_PiS4_S7_S7_d21rocsparse_index_base_imNS_24const_host_device_scalarIfEENS9_IdEENS9_IS5_EEb.num_agpr, 0
	.set _ZN9rocsparseL12csrilu0_hashILj256ELj64ELj4E21rocsparse_complex_numIdEEEviPKiS4_PT2_S4_PiS4_S7_S7_d21rocsparse_index_base_imNS_24const_host_device_scalarIfEENS9_IdEENS9_IS5_EEb.numbered_sgpr, 43
	.set _ZN9rocsparseL12csrilu0_hashILj256ELj64ELj4E21rocsparse_complex_numIdEEEviPKiS4_PT2_S4_PiS4_S7_S7_d21rocsparse_index_base_imNS_24const_host_device_scalarIfEENS9_IdEENS9_IS5_EEb.num_named_barrier, 0
	.set _ZN9rocsparseL12csrilu0_hashILj256ELj64ELj4E21rocsparse_complex_numIdEEEviPKiS4_PT2_S4_PiS4_S7_S7_d21rocsparse_index_base_imNS_24const_host_device_scalarIfEENS9_IdEENS9_IS5_EEb.private_seg_size, 16
	.set _ZN9rocsparseL12csrilu0_hashILj256ELj64ELj4E21rocsparse_complex_numIdEEEviPKiS4_PT2_S4_PiS4_S7_S7_d21rocsparse_index_base_imNS_24const_host_device_scalarIfEENS9_IdEENS9_IS5_EEb.uses_vcc, 1
	.set _ZN9rocsparseL12csrilu0_hashILj256ELj64ELj4E21rocsparse_complex_numIdEEEviPKiS4_PT2_S4_PiS4_S7_S7_d21rocsparse_index_base_imNS_24const_host_device_scalarIfEENS9_IdEENS9_IS5_EEb.uses_flat_scratch, 1
	.set _ZN9rocsparseL12csrilu0_hashILj256ELj64ELj4E21rocsparse_complex_numIdEEEviPKiS4_PT2_S4_PiS4_S7_S7_d21rocsparse_index_base_imNS_24const_host_device_scalarIfEENS9_IdEENS9_IS5_EEb.has_dyn_sized_stack, 0
	.set _ZN9rocsparseL12csrilu0_hashILj256ELj64ELj4E21rocsparse_complex_numIdEEEviPKiS4_PT2_S4_PiS4_S7_S7_d21rocsparse_index_base_imNS_24const_host_device_scalarIfEENS9_IdEENS9_IS5_EEb.has_recursion, 0
	.set _ZN9rocsparseL12csrilu0_hashILj256ELj64ELj4E21rocsparse_complex_numIdEEEviPKiS4_PT2_S4_PiS4_S7_S7_d21rocsparse_index_base_imNS_24const_host_device_scalarIfEENS9_IdEENS9_IS5_EEb.has_indirect_call, 0
	.section	.AMDGPU.csdata,"",@progbits
; Kernel info:
; codeLenInByte = 3520
; TotalNumSgprs: 45
; NumVgprs: 40
; ScratchSize: 16
; MemoryBound: 0
; FloatMode: 240
; IeeeMode: 1
; LDSByteSize: 8192 bytes/workgroup (compile time only)
; SGPRBlocks: 0
; VGPRBlocks: 4
; NumSGPRsForWavesPerEU: 45
; NumVGPRsForWavesPerEU: 40
; Occupancy: 16
; WaveLimiterHint : 1
; COMPUTE_PGM_RSRC2:SCRATCH_EN: 1
; COMPUTE_PGM_RSRC2:USER_SGPR: 8
; COMPUTE_PGM_RSRC2:TRAP_HANDLER: 0
; COMPUTE_PGM_RSRC2:TGID_X_EN: 1
; COMPUTE_PGM_RSRC2:TGID_Y_EN: 0
; COMPUTE_PGM_RSRC2:TGID_Z_EN: 0
; COMPUTE_PGM_RSRC2:TIDIG_COMP_CNT: 0
	.section	.text._ZN9rocsparseL12csrilu0_hashILj256ELj64ELj8E21rocsparse_complex_numIdEEEviPKiS4_PT2_S4_PiS4_S7_S7_d21rocsparse_index_base_imNS_24const_host_device_scalarIfEENS9_IdEENS9_IS5_EEb,"axG",@progbits,_ZN9rocsparseL12csrilu0_hashILj256ELj64ELj8E21rocsparse_complex_numIdEEEviPKiS4_PT2_S4_PiS4_S7_S7_d21rocsparse_index_base_imNS_24const_host_device_scalarIfEENS9_IdEENS9_IS5_EEb,comdat
	.globl	_ZN9rocsparseL12csrilu0_hashILj256ELj64ELj8E21rocsparse_complex_numIdEEEviPKiS4_PT2_S4_PiS4_S7_S7_d21rocsparse_index_base_imNS_24const_host_device_scalarIfEENS9_IdEENS9_IS5_EEb ; -- Begin function _ZN9rocsparseL12csrilu0_hashILj256ELj64ELj8E21rocsparse_complex_numIdEEEviPKiS4_PT2_S4_PiS4_S7_S7_d21rocsparse_index_base_imNS_24const_host_device_scalarIfEENS9_IdEENS9_IS5_EEb
	.p2align	8
	.type	_ZN9rocsparseL12csrilu0_hashILj256ELj64ELj8E21rocsparse_complex_numIdEEEviPKiS4_PT2_S4_PiS4_S7_S7_d21rocsparse_index_base_imNS_24const_host_device_scalarIfEENS9_IdEENS9_IS5_EEb,@function
_ZN9rocsparseL12csrilu0_hashILj256ELj64ELj8E21rocsparse_complex_numIdEEEviPKiS4_PT2_S4_PiS4_S7_S7_d21rocsparse_index_base_imNS_24const_host_device_scalarIfEENS9_IdEENS9_IS5_EEb: ; @_ZN9rocsparseL12csrilu0_hashILj256ELj64ELj8E21rocsparse_complex_numIdEEEviPKiS4_PT2_S4_PiS4_S7_S7_d21rocsparse_index_base_imNS_24const_host_device_scalarIfEENS9_IdEENS9_IS5_EEb
; %bb.0:
	s_add_u32 s6, s6, s9
	s_addc_u32 s7, s7, 0
	s_setreg_b32 hwreg(HW_REG_FLAT_SCR_LO), s6
	s_setreg_b32 hwreg(HW_REG_FLAT_SCR_HI), s7
	s_add_u32 s0, s0, s9
	s_clause 0x3
	s_load_dword s9, s[4:5], 0x80
	s_load_dwordx2 s[34:35], s[4:5], 0x50
	s_load_dwordx8 s[24:31], s[4:5], 0x58
	s_load_dwordx2 s[6:7], s[4:5], 0x78
	s_addc_u32 s1, s1, 0
	s_waitcnt lgkmcnt(0)
	s_bitcmp1_b32 s9, 0
	s_cselect_b32 s9, -1, 0
	s_cmp_eq_u32 s35, 0
	v_mov_b32_e32 v1, s31
	s_cselect_b32 s14, -1, 0
	s_cmp_lg_u32 s35, 0
	v_mov_b32_e32 v2, s30
	s_cselect_b32 s12, -1, 0
	s_or_b32 s15, s14, s9
	buffer_store_dword v1, off, s[0:3], 0 offset:4
	s_xor_b32 s13, s15, -1
	s_and_b32 s10, s14, exec_lo
	s_cselect_b32 s11, 0, s29
	s_cselect_b32 s10, 0, s28
	s_and_b32 vcc_lo, exec_lo, s15
	buffer_store_dword v2, off, s[0:3], 0
	s_cbranch_vccnz .LBB49_2
; %bb.1:
	s_load_dword s10, s[26:27], 0x0
	s_waitcnt lgkmcnt(0)
	v_mov_b32_e32 v25, s10
	s_mov_b64 s[10:11], s[28:29]
	v_mov_b32_e32 v16, s11
	v_mov_b32_e32 v15, s10
	s_andn2_b32 vcc_lo, exec_lo, s13
	s_cbranch_vccz .LBB49_3
	s_branch .LBB49_4
.LBB49_2:
	v_cndmask_b32_e64 v25, s26, 0, s14
	v_mov_b32_e32 v16, s11
	v_mov_b32_e32 v15, s10
	s_andn2_b32 vcc_lo, exec_lo, s13
	s_cbranch_vccnz .LBB49_4
.LBB49_3:
	v_mov_b32_e32 v1, s28
	v_mov_b32_e32 v2, s29
	flat_load_dwordx2 v[15:16], v[1:2]
.LBB49_4:
	v_mov_b32_e32 v3, 0
	v_mov_b32_e32 v1, 0
	v_cndmask_b32_e64 v26, 0, 1, s12
	v_mov_b32_e32 v4, 0
	v_mov_b32_e32 v2, 0
	s_andn2_b32 vcc_lo, exec_lo, s12
	s_cbranch_vccnz .LBB49_7
; %bb.5:
	s_mov_b64 s[10:11], src_private_base
	s_xor_b32 s10, s9, -1
	s_and_b32 s9, s9, exec_lo
	s_cselect_b32 s9, 0, s30
	s_cselect_b32 s11, s11, s31
	v_mov_b32_e32 v1, s9
	v_mov_b32_e32 v2, s11
	;; [unrolled: 1-line block ×4, first 2 shown]
	s_andn2_b32 vcc_lo, exec_lo, s10
	flat_load_dwordx2 v[1:2], v[1:2]
	s_cbranch_vccnz .LBB49_7
; %bb.6:
	v_mov_b32_e32 v3, s30
	v_mov_b32_e32 v4, s31
	flat_load_dwordx2 v[3:4], v[3:4] offset:8
.LBB49_7:
	v_lshrrev_b32_e32 v5, 6, v0
	v_and_b32_e32 v24, 63, v0
	s_mov_b32 s6, 0
	v_lshlrev_b32_e32 v7, 11, v5
	v_lshlrev_b32_e32 v8, 2, v24
	v_or_b32_e32 v6, 0xffffffc0, v24
	v_or3_b32 v7, v7, v8, 0x2000
	v_mov_b32_e32 v8, -1
.LBB49_8:                               ; =>This Inner Loop Header: Depth=1
	v_add_nc_u32_e32 v6, 64, v6
	ds_write_b32 v7, v8
	v_add_nc_u32_e32 v7, 0x100, v7
	v_cmp_lt_u32_e32 vcc_lo, 0x1bf, v6
	s_or_b32 s6, vcc_lo, s6
	s_andn2_b32 exec_lo, exec_lo, s6
	s_cbranch_execnz .LBB49_8
; %bb.9:
	s_or_b32 exec_lo, exec_lo, s6
	s_load_dword s6, s[4:5], 0x0
	s_lshl_b32 s7, s8, 2
	s_waitcnt vmcnt(0) lgkmcnt(0)
	s_waitcnt_vscnt null, 0x0
	buffer_gl0_inv
	v_and_or_b32 v5, 0x3fffffc, s7, v5
	v_cmp_gt_i32_e32 vcc_lo, s6, v5
	s_and_saveexec_b32 s6, vcc_lo
	s_cbranch_execz .LBB49_87
; %bb.10:
	s_load_dwordx16 s[8:23], s[4:5], 0x8
	v_lshlrev_b32_e32 v5, 2, v5
	v_lshlrev_b32_e32 v0, 5, v0
	s_mov_b32 s6, exec_lo
	v_and_b32_e32 v0, 0x1800, v0
	v_or_b32_e32 v27, 0x2000, v0
	s_waitcnt lgkmcnt(0)
	global_load_dword v17, v5, s[18:19]
	s_waitcnt vmcnt(0)
	v_ashrrev_i32_e32 v18, 31, v17
	v_lshlrev_b64 v[13:14], 2, v[17:18]
	v_add_co_u32 v5, vcc_lo, s8, v13
	v_add_co_ci_u32_e64 v6, null, s9, v14, vcc_lo
	v_add_co_u32 v7, vcc_lo, s14, v13
	v_add_co_ci_u32_e64 v8, null, s15, v14, vcc_lo
	global_load_dwordx2 v[5:6], v[5:6], off
	global_load_dword v18, v[7:8], off
	s_waitcnt vmcnt(1)
	v_subrev_nc_u32_e32 v19, s34, v5
	v_subrev_nc_u32_e32 v7, s34, v6
	v_add_nc_u32_e32 v5, v19, v24
	v_cmpx_lt_i32_e64 v5, v7
	s_cbranch_execz .LBB49_33
; %bb.11:
	v_mov_b32_e32 v8, -1
	s_mov_b32 s7, 0
	s_branch .LBB49_13
.LBB49_12:                              ;   in Loop: Header=BB49_13 Depth=1
	s_or_b32 exec_lo, exec_lo, s18
	v_add_nc_u32_e32 v5, 64, v5
	v_cmp_ge_i32_e32 vcc_lo, v5, v7
	s_or_b32 s7, vcc_lo, s7
	s_andn2_b32 exec_lo, exec_lo, s7
	s_cbranch_execz .LBB49_33
.LBB49_13:                              ; =>This Loop Header: Depth=1
                                        ;     Child Loop BB49_22 Depth 2
	v_ashrrev_i32_e32 v6, 31, v5
	s_mov_b32 s18, 0
                                        ; implicit-def: $sgpr19
                                        ; implicit-def: $sgpr26
                                        ; implicit-def: $sgpr27
	v_lshlrev_b64 v[9:10], 2, v[5:6]
	v_add_co_u32 v9, vcc_lo, s10, v9
	v_add_co_ci_u32_e64 v10, null, s11, v10, vcc_lo
	global_load_dword v6, v[9:10], off
	v_mov_b32_e32 v9, 0x200
	s_waitcnt vmcnt(0)
	v_mul_lo_u32 v11, 0x67, v6
	s_branch .LBB49_22
.LBB49_14:                              ;   in Loop: Header=BB49_22 Depth=2
	s_or_b32 exec_lo, exec_lo, s39
	s_orn2_b32 s37, s37, exec_lo
	s_orn2_b32 s38, s38, exec_lo
.LBB49_15:                              ;   in Loop: Header=BB49_22 Depth=2
	s_or_b32 exec_lo, exec_lo, s36
	s_and_b32 s37, s37, exec_lo
	s_orn2_b32 s36, s38, exec_lo
.LBB49_16:                              ;   in Loop: Header=BB49_22 Depth=2
	s_or_b32 exec_lo, exec_lo, s35
	s_orn2_b32 s35, s37, exec_lo
	s_orn2_b32 s36, s36, exec_lo
.LBB49_17:                              ;   in Loop: Header=BB49_22 Depth=2
	s_or_b32 exec_lo, exec_lo, s33
	s_and_b32 s35, s35, exec_lo
	s_orn2_b32 s33, s36, exec_lo
.LBB49_18:                              ;   in Loop: Header=BB49_22 Depth=2
	s_or_b32 exec_lo, exec_lo, s31
	s_orn2_b32 s31, s35, exec_lo
	s_orn2_b32 s33, s33, exec_lo
.LBB49_19:                              ;   in Loop: Header=BB49_22 Depth=2
	s_or_b32 exec_lo, exec_lo, s30
	s_and_b32 s31, s31, exec_lo
	s_orn2_b32 s30, s33, exec_lo
.LBB49_20:                              ;   in Loop: Header=BB49_22 Depth=2
	s_or_b32 exec_lo, exec_lo, s29
	s_andn2_b32 s27, s27, exec_lo
	s_and_b32 s29, s31, exec_lo
	s_andn2_b32 s26, s26, exec_lo
	s_and_b32 s30, s30, exec_lo
	s_or_b32 s27, s27, s29
	s_or_b32 s26, s26, s30
.LBB49_21:                              ;   in Loop: Header=BB49_22 Depth=2
	s_or_b32 exec_lo, exec_lo, s28
	s_and_b32 s28, exec_lo, s26
	s_or_b32 s18, s28, s18
	s_andn2_b32 s19, s19, exec_lo
	s_and_b32 s28, s27, exec_lo
	s_or_b32 s19, s19, s28
	s_andn2_b32 exec_lo, exec_lo, s18
	s_cbranch_execz .LBB49_31
.LBB49_22:                              ;   Parent Loop BB49_13 Depth=1
                                        ; =>  This Inner Loop Header: Depth=2
	v_and_b32_e32 v10, 0x1ff, v11
	s_or_b32 s27, s27, exec_lo
	s_or_b32 s26, s26, exec_lo
	s_mov_b32 s28, exec_lo
	v_lshl_add_u32 v12, v10, 2, v27
	ds_read_b32 v20, v12
	s_waitcnt lgkmcnt(0)
	v_cmpx_ne_u32_e64 v20, v6
	s_cbranch_execz .LBB49_21
; %bb.23:                               ;   in Loop: Header=BB49_22 Depth=2
	ds_cmpst_rtn_b32 v12, v12, v8, v6
	s_mov_b32 s30, -1
	s_mov_b32 s31, 0
	s_mov_b32 s29, exec_lo
	s_waitcnt lgkmcnt(0)
	v_cmpx_ne_u32_e32 -1, v12
	s_cbranch_execz .LBB49_20
; %bb.24:                               ;   in Loop: Header=BB49_22 Depth=2
	v_add_nc_u32_e32 v10, 1, v11
	s_mov_b32 s33, -1
	s_mov_b32 s31, -1
	s_mov_b32 s30, exec_lo
	v_and_b32_e32 v10, 0x1ff, v10
	v_lshl_add_u32 v12, v10, 2, v27
	ds_read_b32 v20, v12
	s_waitcnt lgkmcnt(0)
	v_cmpx_ne_u32_e64 v20, v6
	s_cbranch_execz .LBB49_19
; %bb.25:                               ;   in Loop: Header=BB49_22 Depth=2
	ds_cmpst_rtn_b32 v12, v12, v8, v6
	s_mov_b32 s35, 0
	s_mov_b32 s31, exec_lo
	s_waitcnt lgkmcnt(0)
	v_cmpx_ne_u32_e32 -1, v12
	s_cbranch_execz .LBB49_18
; %bb.26:                               ;   in Loop: Header=BB49_22 Depth=2
	v_add_nc_u32_e32 v10, 2, v11
	s_mov_b32 s36, -1
	s_mov_b32 s35, -1
	s_mov_b32 s33, exec_lo
	v_and_b32_e32 v10, 0x1ff, v10
	v_lshl_add_u32 v12, v10, 2, v27
	ds_read_b32 v20, v12
	s_waitcnt lgkmcnt(0)
	v_cmpx_ne_u32_e64 v20, v6
	s_cbranch_execz .LBB49_17
; %bb.27:                               ;   in Loop: Header=BB49_22 Depth=2
	ds_cmpst_rtn_b32 v12, v12, v8, v6
	s_mov_b32 s37, 0
	s_mov_b32 s35, exec_lo
	s_waitcnt lgkmcnt(0)
	v_cmpx_ne_u32_e32 -1, v12
	s_cbranch_execz .LBB49_16
; %bb.28:                               ;   in Loop: Header=BB49_22 Depth=2
	v_add_nc_u32_e32 v10, 3, v11
	s_mov_b32 s38, -1
	s_mov_b32 s37, -1
	v_and_b32_e32 v10, 0x1ff, v10
	v_lshl_add_u32 v12, v10, 2, v27
	ds_read_b32 v11, v12
	s_waitcnt lgkmcnt(0)
	v_cmp_ne_u32_e32 vcc_lo, v11, v6
                                        ; implicit-def: $vgpr11
	s_and_saveexec_b32 s36, vcc_lo
	s_cbranch_execz .LBB49_15
; %bb.29:                               ;   in Loop: Header=BB49_22 Depth=2
	ds_cmpst_rtn_b32 v11, v12, v8, v6
	s_mov_b32 s37, 0
	s_waitcnt lgkmcnt(0)
	v_cmp_ne_u32_e32 vcc_lo, -1, v11
                                        ; implicit-def: $vgpr11
	s_and_saveexec_b32 s39, vcc_lo
	s_cbranch_execz .LBB49_14
; %bb.30:                               ;   in Loop: Header=BB49_22 Depth=2
	v_add_nc_u32_e32 v9, -4, v9
	v_add_nc_u32_e32 v11, 1, v10
	s_mov_b32 s37, exec_lo
	v_cmp_eq_u32_e32 vcc_lo, 0, v9
	s_orn2_b32 s38, vcc_lo, exec_lo
	s_branch .LBB49_14
.LBB49_31:                              ;   in Loop: Header=BB49_13 Depth=1
	s_or_b32 exec_lo, exec_lo, s18
	s_xor_b32 s18, s19, -1
	s_and_saveexec_b32 s19, s18
	s_xor_b32 s18, exec_lo, s19
	s_cbranch_execz .LBB49_12
; %bb.32:                               ;   in Loop: Header=BB49_13 Depth=1
	v_lshl_add_u32 v6, v10, 2, v0
	ds_write_b32 v6, v5
	s_branch .LBB49_12
.LBB49_33:
	s_or_b32 exec_lo, exec_lo, s6
	s_mov_b32 s7, exec_lo
	s_waitcnt vmcnt(0) lgkmcnt(0)
	buffer_gl0_inv
	v_cmpx_lt_i32_e64 v19, v18
	s_cbranch_execz .LBB49_63
; %bb.34:
	v_add_nc_u32_e32 v28, 1, v24
	s_mov_b32 s18, 0
	s_branch .LBB49_37
.LBB49_35:                              ;   in Loop: Header=BB49_37 Depth=1
	s_or_b32 exec_lo, exec_lo, s19
	v_add_nc_u32_e32 v19, 1, v19
	v_cmp_ge_i32_e32 vcc_lo, v19, v18
	s_orn2_b32 s19, vcc_lo, exec_lo
.LBB49_36:                              ;   in Loop: Header=BB49_37 Depth=1
	s_or_b32 exec_lo, exec_lo, s6
	s_and_b32 s6, exec_lo, s19
	s_or_b32 s18, s6, s18
	s_andn2_b32 exec_lo, exec_lo, s18
	s_cbranch_execz .LBB49_63
.LBB49_37:                              ; =>This Loop Header: Depth=1
                                        ;     Child Loop BB49_38 Depth 2
                                        ;     Child Loop BB49_43 Depth 2
                                        ;       Child Loop BB49_52 Depth 3
	v_ashrrev_i32_e32 v20, 31, v19
	s_mov_b32 s6, 0
	v_lshlrev_b64 v[5:6], 2, v[19:20]
	v_lshlrev_b64 v[7:8], 4, v[19:20]
	v_add_co_u32 v5, vcc_lo, s10, v5
	v_add_co_ci_u32_e64 v6, null, s11, v6, vcc_lo
	v_add_co_u32 v20, vcc_lo, s12, v7
	v_add_co_ci_u32_e64 v21, null, s13, v8, vcc_lo
	global_load_dword v5, v[5:6], off
	s_waitcnt vmcnt(0)
	v_subrev_nc_u32_e32 v5, s34, v5
	v_ashrrev_i32_e32 v6, 31, v5
	v_lshlrev_b64 v[9:10], 2, v[5:6]
	v_add_co_u32 v11, vcc_lo, s8, v9
	v_add_co_ci_u32_e64 v12, null, s9, v10, vcc_lo
	v_add_co_u32 v22, vcc_lo, s14, v9
	v_add_co_ci_u32_e64 v23, null, s15, v10, vcc_lo
	global_load_dwordx4 v[5:8], v[20:21], off
	global_load_dword v11, v[11:12], off offset:4
	global_load_dword v12, v[22:23], off
	v_add_co_u32 v9, vcc_lo, s16, v9
	v_add_co_ci_u32_e64 v10, null, s17, v10, vcc_lo
.LBB49_38:                              ;   Parent Loop BB49_37 Depth=1
                                        ; =>  This Inner Loop Header: Depth=2
	global_load_dword v22, v[9:10], off glc dlc
	s_waitcnt vmcnt(0)
	v_cmp_ne_u32_e32 vcc_lo, 0, v22
	s_or_b32 s6, vcc_lo, s6
	s_andn2_b32 exec_lo, exec_lo, s6
	s_cbranch_execnz .LBB49_38
; %bb.39:                               ;   in Loop: Header=BB49_37 Depth=1
	s_or_b32 exec_lo, exec_lo, s6
	v_subrev_nc_u32_e32 v29, s34, v11
	v_cmp_eq_u32_e32 vcc_lo, -1, v12
	buffer_gl1_inv
	buffer_gl0_inv
	s_mov_b32 s19, -1
	v_add_nc_u32_e32 v9, -1, v29
	v_cndmask_b32_e32 v22, v12, v9, vcc_lo
	v_ashrrev_i32_e32 v23, 31, v22
	v_lshlrev_b64 v[9:10], 4, v[22:23]
	v_add_co_u32 v9, vcc_lo, s12, v9
	v_add_co_ci_u32_e64 v10, null, s13, v10, vcc_lo
	global_load_dwordx4 v[9:12], v[9:10], off
	s_waitcnt vmcnt(0)
	v_cmp_neq_f64_e32 vcc_lo, 0, v[9:10]
	v_cmp_neq_f64_e64 s6, 0, v[11:12]
	s_or_b32 s26, vcc_lo, s6
	s_and_saveexec_b32 s6, s26
	s_cbranch_execz .LBB49_36
; %bb.40:                               ;   in Loop: Header=BB49_37 Depth=1
	v_mul_f64 v[30:31], v[11:12], v[11:12]
	s_mov_b32 s19, exec_lo
	v_fma_f64 v[30:31], v[9:10], v[9:10], v[30:31]
	v_div_scale_f64 v[32:33], null, v[30:31], v[30:31], 1.0
	v_div_scale_f64 v[38:39], vcc_lo, 1.0, v[30:31], 1.0
	v_rcp_f64_e32 v[34:35], v[32:33]
	v_fma_f64 v[36:37], -v[32:33], v[34:35], 1.0
	v_fma_f64 v[34:35], v[34:35], v[36:37], v[34:35]
	v_fma_f64 v[36:37], -v[32:33], v[34:35], 1.0
	v_fma_f64 v[34:35], v[34:35], v[36:37], v[34:35]
	v_mul_f64 v[36:37], v[38:39], v[34:35]
	v_fma_f64 v[32:33], -v[32:33], v[36:37], v[38:39]
	v_mul_f64 v[38:39], v[7:8], v[11:12]
	v_mul_f64 v[11:12], v[11:12], -v[5:6]
	v_div_fmas_f64 v[32:33], v[32:33], v[34:35], v[36:37]
	v_fma_f64 v[5:6], v[5:6], v[9:10], v[38:39]
	v_fma_f64 v[7:8], v[7:8], v[9:10], v[11:12]
	v_add_nc_u32_e32 v9, v28, v22
	v_div_fixup_f64 v[30:31], v[32:33], v[30:31], 1.0
	v_mul_f64 v[5:6], v[5:6], v[30:31]
	v_mul_f64 v[7:8], v[7:8], v[30:31]
	global_store_dwordx4 v[20:21], v[5:8], off
	v_cmpx_lt_i32_e64 v9, v29
	s_cbranch_execz .LBB49_35
; %bb.41:                               ;   in Loop: Header=BB49_37 Depth=1
	s_mov_b32 s26, 0
	s_branch .LBB49_43
.LBB49_42:                              ;   in Loop: Header=BB49_43 Depth=2
	s_or_b32 exec_lo, exec_lo, s27
	v_add_nc_u32_e32 v9, 64, v9
	v_cmp_ge_i32_e32 vcc_lo, v9, v29
	s_or_b32 s26, vcc_lo, s26
	s_andn2_b32 exec_lo, exec_lo, s26
	s_cbranch_execz .LBB49_35
.LBB49_43:                              ;   Parent Loop BB49_37 Depth=1
                                        ; =>  This Loop Header: Depth=2
                                        ;       Child Loop BB49_52 Depth 3
	v_ashrrev_i32_e32 v10, 31, v9
	s_mov_b32 s27, 0
                                        ; implicit-def: $sgpr28
                                        ; implicit-def: $sgpr29
                                        ; implicit-def: $sgpr30
	v_lshlrev_b64 v[11:12], 2, v[9:10]
	v_add_co_u32 v11, vcc_lo, s10, v11
	v_add_co_ci_u32_e64 v12, null, s11, v12, vcc_lo
	global_load_dword v11, v[11:12], off
	v_mov_b32_e32 v12, 0x200
	s_waitcnt vmcnt(0)
	v_mul_lo_u32 v21, 0x67, v11
	s_branch .LBB49_52
.LBB49_44:                              ;   in Loop: Header=BB49_52 Depth=3
	s_or_b32 exec_lo, exec_lo, s42
	s_orn2_b32 s40, s40, exec_lo
	s_orn2_b32 s41, s41, exec_lo
.LBB49_45:                              ;   in Loop: Header=BB49_52 Depth=3
	s_or_b32 exec_lo, exec_lo, s39
	s_and_b32 s40, s40, exec_lo
	s_orn2_b32 s39, s41, exec_lo
.LBB49_46:                              ;   in Loop: Header=BB49_52 Depth=3
	s_or_b32 exec_lo, exec_lo, s38
	s_orn2_b32 s38, s40, exec_lo
	s_orn2_b32 s39, s39, exec_lo
.LBB49_47:                              ;   in Loop: Header=BB49_52 Depth=3
	s_or_b32 exec_lo, exec_lo, s37
	s_and_b32 s38, s38, exec_lo
	s_orn2_b32 s37, s39, exec_lo
.LBB49_48:                              ;   in Loop: Header=BB49_52 Depth=3
	s_or_b32 exec_lo, exec_lo, s36
	s_orn2_b32 s36, s38, exec_lo
	s_orn2_b32 s37, s37, exec_lo
.LBB49_49:                              ;   in Loop: Header=BB49_52 Depth=3
	s_or_b32 exec_lo, exec_lo, s35
	s_and_b32 s36, s36, exec_lo
	s_orn2_b32 s35, s37, exec_lo
.LBB49_50:                              ;   in Loop: Header=BB49_52 Depth=3
	s_or_b32 exec_lo, exec_lo, s33
	s_andn2_b32 s30, s30, exec_lo
	s_and_b32 s33, s36, exec_lo
	s_andn2_b32 s29, s29, exec_lo
	s_and_b32 s35, s35, exec_lo
	s_or_b32 s30, s30, s33
	s_or_b32 s29, s29, s35
.LBB49_51:                              ;   in Loop: Header=BB49_52 Depth=3
	s_or_b32 exec_lo, exec_lo, s31
	s_and_b32 s31, exec_lo, s29
	s_or_b32 s27, s31, s27
	s_andn2_b32 s28, s28, exec_lo
	s_and_b32 s31, s30, exec_lo
	s_or_b32 s28, s28, s31
	s_andn2_b32 exec_lo, exec_lo, s27
	s_cbranch_execz .LBB49_61
.LBB49_52:                              ;   Parent Loop BB49_37 Depth=1
                                        ;     Parent Loop BB49_43 Depth=2
                                        ; =>    This Inner Loop Header: Depth=3
	v_and_b32_e32 v20, 0x1ff, v21
	s_or_b32 s30, s30, exec_lo
	s_or_b32 s29, s29, exec_lo
	s_mov_b32 s31, exec_lo
	v_lshl_add_u32 v22, v20, 2, v27
	ds_read_b32 v22, v22
	s_waitcnt lgkmcnt(0)
	v_cmpx_ne_u32_e32 -1, v22
	s_cbranch_execz .LBB49_51
; %bb.53:                               ;   in Loop: Header=BB49_52 Depth=3
	s_mov_b32 s35, -1
	s_mov_b32 s36, 0
	s_mov_b32 s33, exec_lo
	v_cmpx_ne_u32_e64 v22, v11
	s_cbranch_execz .LBB49_50
; %bb.54:                               ;   in Loop: Header=BB49_52 Depth=3
	v_add_nc_u32_e32 v20, 1, v21
	s_mov_b32 s37, -1
	s_mov_b32 s36, -1
	s_mov_b32 s35, exec_lo
	v_and_b32_e32 v20, 0x1ff, v20
	v_lshl_add_u32 v22, v20, 2, v27
	ds_read_b32 v22, v22
	s_waitcnt lgkmcnt(0)
	v_cmpx_ne_u32_e32 -1, v22
	s_cbranch_execz .LBB49_49
; %bb.55:                               ;   in Loop: Header=BB49_52 Depth=3
	s_mov_b32 s38, 0
	s_mov_b32 s36, exec_lo
	v_cmpx_ne_u32_e64 v22, v11
	s_cbranch_execz .LBB49_48
; %bb.56:                               ;   in Loop: Header=BB49_52 Depth=3
	v_add_nc_u32_e32 v20, 2, v21
	s_mov_b32 s39, -1
	s_mov_b32 s38, -1
	s_mov_b32 s37, exec_lo
	v_and_b32_e32 v20, 0x1ff, v20
	v_lshl_add_u32 v22, v20, 2, v27
	ds_read_b32 v22, v22
	s_waitcnt lgkmcnt(0)
	v_cmpx_ne_u32_e32 -1, v22
	s_cbranch_execz .LBB49_47
; %bb.57:                               ;   in Loop: Header=BB49_52 Depth=3
	s_mov_b32 s40, 0
	s_mov_b32 s38, exec_lo
	v_cmpx_ne_u32_e64 v22, v11
	s_cbranch_execz .LBB49_46
; %bb.58:                               ;   in Loop: Header=BB49_52 Depth=3
	v_add_nc_u32_e32 v20, 3, v21
	s_mov_b32 s41, -1
	s_mov_b32 s40, -1
	s_mov_b32 s39, exec_lo
	v_and_b32_e32 v20, 0x1ff, v20
	v_lshl_add_u32 v21, v20, 2, v27
	ds_read_b32 v22, v21
                                        ; implicit-def: $vgpr21
	s_waitcnt lgkmcnt(0)
	v_cmpx_ne_u32_e32 -1, v22
	s_cbranch_execz .LBB49_45
; %bb.59:                               ;   in Loop: Header=BB49_52 Depth=3
	s_mov_b32 s40, 0
	s_mov_b32 s42, exec_lo
                                        ; implicit-def: $vgpr21
	v_cmpx_ne_u32_e64 v22, v11
	s_cbranch_execz .LBB49_44
; %bb.60:                               ;   in Loop: Header=BB49_52 Depth=3
	v_add_nc_u32_e32 v12, -4, v12
	v_add_nc_u32_e32 v21, 1, v20
	s_mov_b32 s40, exec_lo
	v_cmp_eq_u32_e32 vcc_lo, 0, v12
	s_orn2_b32 s41, vcc_lo, exec_lo
	s_branch .LBB49_44
.LBB49_61:                              ;   in Loop: Header=BB49_43 Depth=2
	s_or_b32 exec_lo, exec_lo, s27
	s_xor_b32 s27, s28, -1
	s_and_saveexec_b32 s28, s27
	s_xor_b32 s27, exec_lo, s28
	s_cbranch_execz .LBB49_42
; %bb.62:                               ;   in Loop: Header=BB49_43 Depth=2
	v_lshl_add_u32 v11, v20, 2, v0
	v_lshlrev_b64 v[20:21], 4, v[9:10]
	ds_read_b32 v11, v11
	v_add_co_u32 v20, vcc_lo, s12, v20
	v_add_co_ci_u32_e64 v21, null, s13, v21, vcc_lo
	s_waitcnt lgkmcnt(0)
	v_ashrrev_i32_e32 v12, 31, v11
	v_lshlrev_b64 v[10:11], 4, v[11:12]
	v_add_co_u32 v10, vcc_lo, s12, v10
	v_add_co_ci_u32_e64 v11, null, s13, v11, vcc_lo
	s_clause 0x1
	global_load_dwordx4 v[20:23], v[20:21], off
	global_load_dwordx4 v[30:33], v[10:11], off
	s_waitcnt vmcnt(0)
	v_fma_f64 v[30:31], -v[5:6], v[20:21], v[30:31]
	v_fma_f64 v[32:33], -v[7:8], v[20:21], v[32:33]
	v_fma_f64 v[20:21], v[7:8], v[22:23], v[30:31]
	v_fma_f64 v[22:23], -v[5:6], v[22:23], v[32:33]
	global_store_dwordx4 v[10:11], v[20:23], off
	s_branch .LBB49_42
.LBB49_63:
	s_or_b32 exec_lo, exec_lo, s7
	s_mov_b32 s7, exec_lo
	s_waitcnt_vscnt null, 0x0
	buffer_gl0_inv
	v_cmpx_lt_i32_e32 -1, v18
	s_cbranch_execz .LBB49_85
; %bb.64:
	v_mov_b32_e32 v19, 0
	s_mov_b32 s6, exec_lo
	v_lshlrev_b64 v[5:6], 4, v[18:19]
	v_add_co_u32 v9, vcc_lo, s12, v5
	v_add_co_ci_u32_e64 v10, null, s13, v6, vcc_lo
	global_load_dwordx4 v[5:8], v[9:10], off
	s_waitcnt vmcnt(0)
	v_cmp_gt_f64_e32 vcc_lo, 0, v[5:6]
	v_xor_b32_e32 v0, 0x80000000, v6
	v_xor_b32_e32 v18, 0x80000000, v8
	v_mov_b32_e32 v11, v5
	v_mov_b32_e32 v20, v7
	v_cndmask_b32_e32 v12, v6, v0, vcc_lo
	v_cmp_gt_f64_e32 vcc_lo, 0, v[7:8]
	v_cndmask_b32_e32 v21, v8, v18, vcc_lo
                                        ; implicit-def: $vgpr18_vgpr19
	v_cmpx_ngt_f64_e32 v[11:12], v[20:21]
	s_xor_b32 s6, exec_lo, s6
	s_cbranch_execz .LBB49_68
; %bb.65:
	v_mov_b32_e32 v18, 0
	v_mov_b32_e32 v19, 0
	s_mov_b32 s8, exec_lo
	v_cmpx_neq_f64_e32 0, v[7:8]
	s_cbranch_execz .LBB49_67
; %bb.66:
	v_div_scale_f64 v[18:19], null, v[20:21], v[20:21], v[11:12]
	v_div_scale_f64 v[29:30], vcc_lo, v[11:12], v[20:21], v[11:12]
	v_rcp_f64_e32 v[22:23], v[18:19]
	v_fma_f64 v[27:28], -v[18:19], v[22:23], 1.0
	v_fma_f64 v[22:23], v[22:23], v[27:28], v[22:23]
	v_fma_f64 v[27:28], -v[18:19], v[22:23], 1.0
	v_fma_f64 v[22:23], v[22:23], v[27:28], v[22:23]
	v_mul_f64 v[27:28], v[29:30], v[22:23]
	v_fma_f64 v[18:19], -v[18:19], v[27:28], v[29:30]
	v_div_fmas_f64 v[18:19], v[18:19], v[22:23], v[27:28]
	v_div_fixup_f64 v[11:12], v[18:19], v[20:21], v[11:12]
	v_fma_f64 v[11:12], v[11:12], v[11:12], 1.0
	v_cmp_gt_f64_e32 vcc_lo, 0x10000000, v[11:12]
	v_cndmask_b32_e64 v0, 0, 0x100, vcc_lo
	v_ldexp_f64 v[11:12], v[11:12], v0
	v_cndmask_b32_e64 v0, 0, 0xffffff80, vcc_lo
	v_rsq_f64_e32 v[18:19], v[11:12]
	v_cmp_class_f64_e64 vcc_lo, v[11:12], 0x260
	v_mul_f64 v[22:23], v[11:12], v[18:19]
	v_mul_f64 v[18:19], v[18:19], 0.5
	v_fma_f64 v[27:28], -v[18:19], v[22:23], 0.5
	v_fma_f64 v[22:23], v[22:23], v[27:28], v[22:23]
	v_fma_f64 v[18:19], v[18:19], v[27:28], v[18:19]
	v_fma_f64 v[27:28], -v[22:23], v[22:23], v[11:12]
	v_fma_f64 v[22:23], v[27:28], v[18:19], v[22:23]
	v_fma_f64 v[27:28], -v[22:23], v[22:23], v[11:12]
	v_fma_f64 v[18:19], v[27:28], v[18:19], v[22:23]
	v_ldexp_f64 v[18:19], v[18:19], v0
	v_cndmask_b32_e32 v12, v19, v12, vcc_lo
	v_cndmask_b32_e32 v11, v18, v11, vcc_lo
	v_mul_f64 v[18:19], v[20:21], v[11:12]
.LBB49_67:
	s_or_b32 exec_lo, exec_lo, s8
                                        ; implicit-def: $vgpr11_vgpr12
                                        ; implicit-def: $vgpr20_vgpr21
.LBB49_68:
	s_andn2_saveexec_b32 s6, s6
	s_cbranch_execz .LBB49_70
; %bb.69:
	v_div_scale_f64 v[18:19], null, v[11:12], v[11:12], v[20:21]
	v_div_scale_f64 v[29:30], vcc_lo, v[20:21], v[11:12], v[20:21]
	v_rcp_f64_e32 v[22:23], v[18:19]
	v_fma_f64 v[27:28], -v[18:19], v[22:23], 1.0
	v_fma_f64 v[22:23], v[22:23], v[27:28], v[22:23]
	v_fma_f64 v[27:28], -v[18:19], v[22:23], 1.0
	v_fma_f64 v[22:23], v[22:23], v[27:28], v[22:23]
	v_mul_f64 v[27:28], v[29:30], v[22:23]
	v_fma_f64 v[18:19], -v[18:19], v[27:28], v[29:30]
	v_div_fmas_f64 v[18:19], v[18:19], v[22:23], v[27:28]
	v_div_fixup_f64 v[18:19], v[18:19], v[11:12], v[20:21]
	v_fma_f64 v[18:19], v[18:19], v[18:19], 1.0
	v_cmp_gt_f64_e32 vcc_lo, 0x10000000, v[18:19]
	v_cndmask_b32_e64 v0, 0, 0x100, vcc_lo
	v_ldexp_f64 v[18:19], v[18:19], v0
	v_cndmask_b32_e64 v0, 0, 0xffffff80, vcc_lo
	v_rsq_f64_e32 v[20:21], v[18:19]
	v_cmp_class_f64_e64 vcc_lo, v[18:19], 0x260
	v_mul_f64 v[22:23], v[18:19], v[20:21]
	v_mul_f64 v[20:21], v[20:21], 0.5
	v_fma_f64 v[27:28], -v[20:21], v[22:23], 0.5
	v_fma_f64 v[22:23], v[22:23], v[27:28], v[22:23]
	v_fma_f64 v[20:21], v[20:21], v[27:28], v[20:21]
	v_fma_f64 v[27:28], -v[22:23], v[22:23], v[18:19]
	v_fma_f64 v[22:23], v[27:28], v[20:21], v[22:23]
	v_fma_f64 v[27:28], -v[22:23], v[22:23], v[18:19]
	v_fma_f64 v[20:21], v[27:28], v[20:21], v[22:23]
	v_ldexp_f64 v[20:21], v[20:21], v0
	v_cndmask_b32_e32 v19, v21, v19, vcc_lo
	v_cndmask_b32_e32 v18, v20, v18, vcc_lo
	v_mul_f64 v[18:19], v[11:12], v[18:19]
.LBB49_70:
	s_or_b32 exec_lo, exec_lo, s6
	v_cmp_ne_u32_e32 vcc_lo, 1, v26
	v_cmp_eq_u32_e64 s6, 0, v24
	s_mov_b32 s8, -1
	s_cbranch_vccnz .LBB49_74
; %bb.71:
	v_cvt_f64_f32_e32 v[11:12], v25
	s_cmp_eq_u64 s[24:25], 8
	s_cselect_b32 vcc_lo, -1, 0
	v_cndmask_b32_e32 v12, v12, v16, vcc_lo
	v_cndmask_b32_e32 v11, v11, v15, vcc_lo
	v_cmp_le_f64_e32 vcc_lo, v[18:19], v[11:12]
	s_and_b32 s9, s6, vcc_lo
	s_and_saveexec_b32 s8, s9
	s_cbranch_execz .LBB49_73
; %bb.72:
	global_store_dwordx4 v[9:10], v[1:4], off
	s_waitcnt_vscnt null, 0x0
	buffer_gl1_inv
	buffer_gl0_inv
.LBB49_73:
	s_or_b32 exec_lo, exec_lo, s8
	s_mov_b32 s8, 0
.LBB49_74:
	s_andn2_b32 vcc_lo, exec_lo, s8
	s_cbranch_vccnz .LBB49_85
; %bb.75:
	s_load_dwordx2 s[4:5], s[4:5], 0x48
	v_add_nc_u32_e32 v0, s34, v17
	s_waitcnt lgkmcnt(0)
	v_cmp_ge_f64_e32 vcc_lo, s[4:5], v[18:19]
	s_and_b32 s5, s6, vcc_lo
	s_and_saveexec_b32 s4, s5
	s_cbranch_execz .LBB49_80
; %bb.76:
	s_mov_b32 s8, exec_lo
	s_brev_b32 s5, -2
.LBB49_77:                              ; =>This Inner Loop Header: Depth=1
	s_ff1_i32_b32 s9, s8
	v_readlane_b32 s10, v0, s9
	s_lshl_b32 s9, 1, s9
	s_andn2_b32 s8, s8, s9
	s_min_i32 s5, s5, s10
	s_cmp_lg_u32 s8, 0
	s_cbranch_scc1 .LBB49_77
; %bb.78:
	v_mbcnt_lo_u32_b32 v1, exec_lo, 0
	s_mov_b32 s8, exec_lo
	v_cmpx_eq_u32_e32 0, v1
	s_xor_b32 s8, exec_lo, s8
	s_cbranch_execz .LBB49_80
; %bb.79:
	v_mov_b32_e32 v1, 0
	v_mov_b32_e32 v2, s5
	global_atomic_smin v1, v2, s[22:23]
.LBB49_80:
	s_or_b32 exec_lo, exec_lo, s4
	v_cmp_eq_f64_e32 vcc_lo, 0, v[5:6]
	v_cmp_eq_f64_e64 s4, 0, v[7:8]
	s_and_b32 s4, vcc_lo, s4
	s_and_b32 s4, s6, s4
	s_and_b32 exec_lo, exec_lo, s4
	s_cbranch_execz .LBB49_85
; %bb.81:
	s_mov_b32 s5, exec_lo
	s_brev_b32 s4, -2
.LBB49_82:                              ; =>This Inner Loop Header: Depth=1
	s_ff1_i32_b32 s6, s5
	v_readlane_b32 s8, v0, s6
	s_lshl_b32 s6, 1, s6
	s_andn2_b32 s5, s5, s6
	s_min_i32 s4, s4, s8
	s_cmp_lg_u32 s5, 0
	s_cbranch_scc1 .LBB49_82
; %bb.83:
	v_mbcnt_lo_u32_b32 v0, exec_lo, 0
	s_mov_b32 s5, exec_lo
	v_cmpx_eq_u32_e32 0, v0
	s_xor_b32 s5, exec_lo, s5
	s_cbranch_execz .LBB49_85
; %bb.84:
	v_mov_b32_e32 v0, 0
	v_mov_b32_e32 v1, s4
	global_atomic_smin v0, v1, s[20:21]
.LBB49_85:
	s_or_b32 exec_lo, exec_lo, s7
	v_cmp_eq_u32_e32 vcc_lo, 0, v24
	s_waitcnt_vscnt null, 0x0
	buffer_gl1_inv
	buffer_gl0_inv
	s_and_b32 exec_lo, exec_lo, vcc_lo
	s_cbranch_execz .LBB49_87
; %bb.86:
	v_add_co_u32 v0, vcc_lo, s16, v13
	v_add_co_ci_u32_e64 v1, null, s17, v14, vcc_lo
	v_mov_b32_e32 v2, 1
	global_store_dword v[0:1], v2, off
.LBB49_87:
	s_endpgm
	.section	.rodata,"a",@progbits
	.p2align	6, 0x0
	.amdhsa_kernel _ZN9rocsparseL12csrilu0_hashILj256ELj64ELj8E21rocsparse_complex_numIdEEEviPKiS4_PT2_S4_PiS4_S7_S7_d21rocsparse_index_base_imNS_24const_host_device_scalarIfEENS9_IdEENS9_IS5_EEb
		.amdhsa_group_segment_fixed_size 16384
		.amdhsa_private_segment_fixed_size 16
		.amdhsa_kernarg_size 132
		.amdhsa_user_sgpr_count 8
		.amdhsa_user_sgpr_private_segment_buffer 1
		.amdhsa_user_sgpr_dispatch_ptr 0
		.amdhsa_user_sgpr_queue_ptr 0
		.amdhsa_user_sgpr_kernarg_segment_ptr 1
		.amdhsa_user_sgpr_dispatch_id 0
		.amdhsa_user_sgpr_flat_scratch_init 1
		.amdhsa_user_sgpr_private_segment_size 0
		.amdhsa_wavefront_size32 1
		.amdhsa_uses_dynamic_stack 0
		.amdhsa_system_sgpr_private_segment_wavefront_offset 1
		.amdhsa_system_sgpr_workgroup_id_x 1
		.amdhsa_system_sgpr_workgroup_id_y 0
		.amdhsa_system_sgpr_workgroup_id_z 0
		.amdhsa_system_sgpr_workgroup_info 0
		.amdhsa_system_vgpr_workitem_id 0
		.amdhsa_next_free_vgpr 40
		.amdhsa_next_free_sgpr 43
		.amdhsa_reserve_vcc 1
		.amdhsa_reserve_flat_scratch 1
		.amdhsa_float_round_mode_32 0
		.amdhsa_float_round_mode_16_64 0
		.amdhsa_float_denorm_mode_32 3
		.amdhsa_float_denorm_mode_16_64 3
		.amdhsa_dx10_clamp 1
		.amdhsa_ieee_mode 1
		.amdhsa_fp16_overflow 0
		.amdhsa_workgroup_processor_mode 1
		.amdhsa_memory_ordered 1
		.amdhsa_forward_progress 1
		.amdhsa_shared_vgpr_count 0
		.amdhsa_exception_fp_ieee_invalid_op 0
		.amdhsa_exception_fp_denorm_src 0
		.amdhsa_exception_fp_ieee_div_zero 0
		.amdhsa_exception_fp_ieee_overflow 0
		.amdhsa_exception_fp_ieee_underflow 0
		.amdhsa_exception_fp_ieee_inexact 0
		.amdhsa_exception_int_div_zero 0
	.end_amdhsa_kernel
	.section	.text._ZN9rocsparseL12csrilu0_hashILj256ELj64ELj8E21rocsparse_complex_numIdEEEviPKiS4_PT2_S4_PiS4_S7_S7_d21rocsparse_index_base_imNS_24const_host_device_scalarIfEENS9_IdEENS9_IS5_EEb,"axG",@progbits,_ZN9rocsparseL12csrilu0_hashILj256ELj64ELj8E21rocsparse_complex_numIdEEEviPKiS4_PT2_S4_PiS4_S7_S7_d21rocsparse_index_base_imNS_24const_host_device_scalarIfEENS9_IdEENS9_IS5_EEb,comdat
.Lfunc_end49:
	.size	_ZN9rocsparseL12csrilu0_hashILj256ELj64ELj8E21rocsparse_complex_numIdEEEviPKiS4_PT2_S4_PiS4_S7_S7_d21rocsparse_index_base_imNS_24const_host_device_scalarIfEENS9_IdEENS9_IS5_EEb, .Lfunc_end49-_ZN9rocsparseL12csrilu0_hashILj256ELj64ELj8E21rocsparse_complex_numIdEEEviPKiS4_PT2_S4_PiS4_S7_S7_d21rocsparse_index_base_imNS_24const_host_device_scalarIfEENS9_IdEENS9_IS5_EEb
                                        ; -- End function
	.set _ZN9rocsparseL12csrilu0_hashILj256ELj64ELj8E21rocsparse_complex_numIdEEEviPKiS4_PT2_S4_PiS4_S7_S7_d21rocsparse_index_base_imNS_24const_host_device_scalarIfEENS9_IdEENS9_IS5_EEb.num_vgpr, 40
	.set _ZN9rocsparseL12csrilu0_hashILj256ELj64ELj8E21rocsparse_complex_numIdEEEviPKiS4_PT2_S4_PiS4_S7_S7_d21rocsparse_index_base_imNS_24const_host_device_scalarIfEENS9_IdEENS9_IS5_EEb.num_agpr, 0
	.set _ZN9rocsparseL12csrilu0_hashILj256ELj64ELj8E21rocsparse_complex_numIdEEEviPKiS4_PT2_S4_PiS4_S7_S7_d21rocsparse_index_base_imNS_24const_host_device_scalarIfEENS9_IdEENS9_IS5_EEb.numbered_sgpr, 43
	.set _ZN9rocsparseL12csrilu0_hashILj256ELj64ELj8E21rocsparse_complex_numIdEEEviPKiS4_PT2_S4_PiS4_S7_S7_d21rocsparse_index_base_imNS_24const_host_device_scalarIfEENS9_IdEENS9_IS5_EEb.num_named_barrier, 0
	.set _ZN9rocsparseL12csrilu0_hashILj256ELj64ELj8E21rocsparse_complex_numIdEEEviPKiS4_PT2_S4_PiS4_S7_S7_d21rocsparse_index_base_imNS_24const_host_device_scalarIfEENS9_IdEENS9_IS5_EEb.private_seg_size, 16
	.set _ZN9rocsparseL12csrilu0_hashILj256ELj64ELj8E21rocsparse_complex_numIdEEEviPKiS4_PT2_S4_PiS4_S7_S7_d21rocsparse_index_base_imNS_24const_host_device_scalarIfEENS9_IdEENS9_IS5_EEb.uses_vcc, 1
	.set _ZN9rocsparseL12csrilu0_hashILj256ELj64ELj8E21rocsparse_complex_numIdEEEviPKiS4_PT2_S4_PiS4_S7_S7_d21rocsparse_index_base_imNS_24const_host_device_scalarIfEENS9_IdEENS9_IS5_EEb.uses_flat_scratch, 1
	.set _ZN9rocsparseL12csrilu0_hashILj256ELj64ELj8E21rocsparse_complex_numIdEEEviPKiS4_PT2_S4_PiS4_S7_S7_d21rocsparse_index_base_imNS_24const_host_device_scalarIfEENS9_IdEENS9_IS5_EEb.has_dyn_sized_stack, 0
	.set _ZN9rocsparseL12csrilu0_hashILj256ELj64ELj8E21rocsparse_complex_numIdEEEviPKiS4_PT2_S4_PiS4_S7_S7_d21rocsparse_index_base_imNS_24const_host_device_scalarIfEENS9_IdEENS9_IS5_EEb.has_recursion, 0
	.set _ZN9rocsparseL12csrilu0_hashILj256ELj64ELj8E21rocsparse_complex_numIdEEEviPKiS4_PT2_S4_PiS4_S7_S7_d21rocsparse_index_base_imNS_24const_host_device_scalarIfEENS9_IdEENS9_IS5_EEb.has_indirect_call, 0
	.section	.AMDGPU.csdata,"",@progbits
; Kernel info:
; codeLenInByte = 3520
; TotalNumSgprs: 45
; NumVgprs: 40
; ScratchSize: 16
; MemoryBound: 0
; FloatMode: 240
; IeeeMode: 1
; LDSByteSize: 16384 bytes/workgroup (compile time only)
; SGPRBlocks: 0
; VGPRBlocks: 4
; NumSGPRsForWavesPerEU: 45
; NumVGPRsForWavesPerEU: 40
; Occupancy: 16
; WaveLimiterHint : 1
; COMPUTE_PGM_RSRC2:SCRATCH_EN: 1
; COMPUTE_PGM_RSRC2:USER_SGPR: 8
; COMPUTE_PGM_RSRC2:TRAP_HANDLER: 0
; COMPUTE_PGM_RSRC2:TGID_X_EN: 1
; COMPUTE_PGM_RSRC2:TGID_Y_EN: 0
; COMPUTE_PGM_RSRC2:TGID_Z_EN: 0
; COMPUTE_PGM_RSRC2:TIDIG_COMP_CNT: 0
	.section	.text._ZN9rocsparseL12csrilu0_hashILj256ELj64ELj16E21rocsparse_complex_numIdEEEviPKiS4_PT2_S4_PiS4_S7_S7_d21rocsparse_index_base_imNS_24const_host_device_scalarIfEENS9_IdEENS9_IS5_EEb,"axG",@progbits,_ZN9rocsparseL12csrilu0_hashILj256ELj64ELj16E21rocsparse_complex_numIdEEEviPKiS4_PT2_S4_PiS4_S7_S7_d21rocsparse_index_base_imNS_24const_host_device_scalarIfEENS9_IdEENS9_IS5_EEb,comdat
	.globl	_ZN9rocsparseL12csrilu0_hashILj256ELj64ELj16E21rocsparse_complex_numIdEEEviPKiS4_PT2_S4_PiS4_S7_S7_d21rocsparse_index_base_imNS_24const_host_device_scalarIfEENS9_IdEENS9_IS5_EEb ; -- Begin function _ZN9rocsparseL12csrilu0_hashILj256ELj64ELj16E21rocsparse_complex_numIdEEEviPKiS4_PT2_S4_PiS4_S7_S7_d21rocsparse_index_base_imNS_24const_host_device_scalarIfEENS9_IdEENS9_IS5_EEb
	.p2align	8
	.type	_ZN9rocsparseL12csrilu0_hashILj256ELj64ELj16E21rocsparse_complex_numIdEEEviPKiS4_PT2_S4_PiS4_S7_S7_d21rocsparse_index_base_imNS_24const_host_device_scalarIfEENS9_IdEENS9_IS5_EEb,@function
_ZN9rocsparseL12csrilu0_hashILj256ELj64ELj16E21rocsparse_complex_numIdEEEviPKiS4_PT2_S4_PiS4_S7_S7_d21rocsparse_index_base_imNS_24const_host_device_scalarIfEENS9_IdEENS9_IS5_EEb: ; @_ZN9rocsparseL12csrilu0_hashILj256ELj64ELj16E21rocsparse_complex_numIdEEEviPKiS4_PT2_S4_PiS4_S7_S7_d21rocsparse_index_base_imNS_24const_host_device_scalarIfEENS9_IdEENS9_IS5_EEb
; %bb.0:
	s_add_u32 s6, s6, s9
	s_addc_u32 s7, s7, 0
	s_setreg_b32 hwreg(HW_REG_FLAT_SCR_LO), s6
	s_setreg_b32 hwreg(HW_REG_FLAT_SCR_HI), s7
	s_add_u32 s0, s0, s9
	s_clause 0x3
	s_load_dword s9, s[4:5], 0x80
	s_load_dwordx2 s[34:35], s[4:5], 0x50
	s_load_dwordx8 s[24:31], s[4:5], 0x58
	s_load_dwordx2 s[6:7], s[4:5], 0x78
	s_addc_u32 s1, s1, 0
	s_waitcnt lgkmcnt(0)
	s_bitcmp1_b32 s9, 0
	s_cselect_b32 s9, -1, 0
	s_cmp_eq_u32 s35, 0
	v_mov_b32_e32 v1, s31
	s_cselect_b32 s14, -1, 0
	s_cmp_lg_u32 s35, 0
	v_mov_b32_e32 v2, s30
	s_cselect_b32 s12, -1, 0
	s_or_b32 s15, s14, s9
	buffer_store_dword v1, off, s[0:3], 0 offset:4
	s_xor_b32 s13, s15, -1
	s_and_b32 s10, s14, exec_lo
	s_cselect_b32 s11, 0, s29
	s_cselect_b32 s10, 0, s28
	s_and_b32 vcc_lo, exec_lo, s15
	buffer_store_dword v2, off, s[0:3], 0
	s_cbranch_vccnz .LBB50_2
; %bb.1:
	s_load_dword s10, s[26:27], 0x0
	s_waitcnt lgkmcnt(0)
	v_mov_b32_e32 v25, s10
	s_mov_b64 s[10:11], s[28:29]
	v_mov_b32_e32 v16, s11
	v_mov_b32_e32 v15, s10
	s_andn2_b32 vcc_lo, exec_lo, s13
	s_cbranch_vccz .LBB50_3
	s_branch .LBB50_4
.LBB50_2:
	v_cndmask_b32_e64 v25, s26, 0, s14
	v_mov_b32_e32 v16, s11
	v_mov_b32_e32 v15, s10
	s_andn2_b32 vcc_lo, exec_lo, s13
	s_cbranch_vccnz .LBB50_4
.LBB50_3:
	v_mov_b32_e32 v1, s28
	v_mov_b32_e32 v2, s29
	flat_load_dwordx2 v[15:16], v[1:2]
.LBB50_4:
	v_mov_b32_e32 v3, 0
	v_mov_b32_e32 v1, 0
	v_cndmask_b32_e64 v26, 0, 1, s12
	v_mov_b32_e32 v4, 0
	v_mov_b32_e32 v2, 0
	s_andn2_b32 vcc_lo, exec_lo, s12
	s_cbranch_vccnz .LBB50_7
; %bb.5:
	s_mov_b64 s[10:11], src_private_base
	s_xor_b32 s10, s9, -1
	s_and_b32 s9, s9, exec_lo
	s_cselect_b32 s9, 0, s30
	s_cselect_b32 s11, s11, s31
	v_mov_b32_e32 v1, s9
	v_mov_b32_e32 v2, s11
	;; [unrolled: 1-line block ×4, first 2 shown]
	s_andn2_b32 vcc_lo, exec_lo, s10
	flat_load_dwordx2 v[1:2], v[1:2]
	s_cbranch_vccnz .LBB50_7
; %bb.6:
	v_mov_b32_e32 v3, s30
	v_mov_b32_e32 v4, s31
	flat_load_dwordx2 v[3:4], v[3:4] offset:8
.LBB50_7:
	v_lshrrev_b32_e32 v5, 6, v0
	v_and_b32_e32 v24, 63, v0
	s_mov_b32 s6, 0
	v_lshlrev_b32_e32 v7, 12, v5
	v_lshlrev_b32_e32 v8, 2, v24
	v_or_b32_e32 v6, 0xffffffc0, v24
	v_or3_b32 v7, v7, v8, 0x4000
	v_mov_b32_e32 v8, -1
.LBB50_8:                               ; =>This Inner Loop Header: Depth=1
	v_add_nc_u32_e32 v6, 64, v6
	ds_write_b32 v7, v8
	v_add_nc_u32_e32 v7, 0x100, v7
	v_cmp_lt_u32_e32 vcc_lo, 0x3bf, v6
	s_or_b32 s6, vcc_lo, s6
	s_andn2_b32 exec_lo, exec_lo, s6
	s_cbranch_execnz .LBB50_8
; %bb.9:
	s_or_b32 exec_lo, exec_lo, s6
	s_load_dword s6, s[4:5], 0x0
	s_lshl_b32 s7, s8, 2
	s_waitcnt vmcnt(0) lgkmcnt(0)
	s_waitcnt_vscnt null, 0x0
	buffer_gl0_inv
	v_and_or_b32 v5, 0x3fffffc, s7, v5
	v_cmp_gt_i32_e32 vcc_lo, s6, v5
	s_and_saveexec_b32 s6, vcc_lo
	s_cbranch_execz .LBB50_87
; %bb.10:
	s_load_dwordx16 s[8:23], s[4:5], 0x8
	v_lshlrev_b32_e32 v5, 2, v5
	v_lshlrev_b32_e32 v0, 6, v0
	s_mov_b32 s6, exec_lo
	v_and_b32_e32 v0, 0x3000, v0
	v_or_b32_e32 v27, 0x4000, v0
	s_waitcnt lgkmcnt(0)
	global_load_dword v17, v5, s[18:19]
	s_waitcnt vmcnt(0)
	v_ashrrev_i32_e32 v18, 31, v17
	v_lshlrev_b64 v[13:14], 2, v[17:18]
	v_add_co_u32 v5, vcc_lo, s8, v13
	v_add_co_ci_u32_e64 v6, null, s9, v14, vcc_lo
	v_add_co_u32 v7, vcc_lo, s14, v13
	v_add_co_ci_u32_e64 v8, null, s15, v14, vcc_lo
	global_load_dwordx2 v[5:6], v[5:6], off
	global_load_dword v18, v[7:8], off
	s_waitcnt vmcnt(1)
	v_subrev_nc_u32_e32 v19, s34, v5
	v_subrev_nc_u32_e32 v7, s34, v6
	v_add_nc_u32_e32 v5, v19, v24
	v_cmpx_lt_i32_e64 v5, v7
	s_cbranch_execz .LBB50_33
; %bb.11:
	v_mov_b32_e32 v8, -1
	s_mov_b32 s7, 0
	s_branch .LBB50_13
.LBB50_12:                              ;   in Loop: Header=BB50_13 Depth=1
	s_or_b32 exec_lo, exec_lo, s18
	v_add_nc_u32_e32 v5, 64, v5
	v_cmp_ge_i32_e32 vcc_lo, v5, v7
	s_or_b32 s7, vcc_lo, s7
	s_andn2_b32 exec_lo, exec_lo, s7
	s_cbranch_execz .LBB50_33
.LBB50_13:                              ; =>This Loop Header: Depth=1
                                        ;     Child Loop BB50_22 Depth 2
	v_ashrrev_i32_e32 v6, 31, v5
	s_mov_b32 s18, 0
                                        ; implicit-def: $sgpr19
                                        ; implicit-def: $sgpr26
                                        ; implicit-def: $sgpr27
	v_lshlrev_b64 v[9:10], 2, v[5:6]
	v_add_co_u32 v9, vcc_lo, s10, v9
	v_add_co_ci_u32_e64 v10, null, s11, v10, vcc_lo
	global_load_dword v6, v[9:10], off
	v_mov_b32_e32 v9, 0x400
	s_waitcnt vmcnt(0)
	v_mul_lo_u32 v11, 0x67, v6
	s_branch .LBB50_22
.LBB50_14:                              ;   in Loop: Header=BB50_22 Depth=2
	s_or_b32 exec_lo, exec_lo, s39
	s_orn2_b32 s37, s37, exec_lo
	s_orn2_b32 s38, s38, exec_lo
.LBB50_15:                              ;   in Loop: Header=BB50_22 Depth=2
	s_or_b32 exec_lo, exec_lo, s36
	s_and_b32 s37, s37, exec_lo
	s_orn2_b32 s36, s38, exec_lo
.LBB50_16:                              ;   in Loop: Header=BB50_22 Depth=2
	s_or_b32 exec_lo, exec_lo, s35
	s_orn2_b32 s35, s37, exec_lo
	s_orn2_b32 s36, s36, exec_lo
.LBB50_17:                              ;   in Loop: Header=BB50_22 Depth=2
	s_or_b32 exec_lo, exec_lo, s33
	s_and_b32 s35, s35, exec_lo
	s_orn2_b32 s33, s36, exec_lo
.LBB50_18:                              ;   in Loop: Header=BB50_22 Depth=2
	s_or_b32 exec_lo, exec_lo, s31
	s_orn2_b32 s31, s35, exec_lo
	s_orn2_b32 s33, s33, exec_lo
.LBB50_19:                              ;   in Loop: Header=BB50_22 Depth=2
	s_or_b32 exec_lo, exec_lo, s30
	s_and_b32 s31, s31, exec_lo
	s_orn2_b32 s30, s33, exec_lo
.LBB50_20:                              ;   in Loop: Header=BB50_22 Depth=2
	s_or_b32 exec_lo, exec_lo, s29
	s_andn2_b32 s27, s27, exec_lo
	s_and_b32 s29, s31, exec_lo
	s_andn2_b32 s26, s26, exec_lo
	s_and_b32 s30, s30, exec_lo
	s_or_b32 s27, s27, s29
	s_or_b32 s26, s26, s30
.LBB50_21:                              ;   in Loop: Header=BB50_22 Depth=2
	s_or_b32 exec_lo, exec_lo, s28
	s_and_b32 s28, exec_lo, s26
	s_or_b32 s18, s28, s18
	s_andn2_b32 s19, s19, exec_lo
	s_and_b32 s28, s27, exec_lo
	s_or_b32 s19, s19, s28
	s_andn2_b32 exec_lo, exec_lo, s18
	s_cbranch_execz .LBB50_31
.LBB50_22:                              ;   Parent Loop BB50_13 Depth=1
                                        ; =>  This Inner Loop Header: Depth=2
	v_and_b32_e32 v10, 0x3ff, v11
	s_or_b32 s27, s27, exec_lo
	s_or_b32 s26, s26, exec_lo
	s_mov_b32 s28, exec_lo
	v_lshl_add_u32 v12, v10, 2, v27
	ds_read_b32 v20, v12
	s_waitcnt lgkmcnt(0)
	v_cmpx_ne_u32_e64 v20, v6
	s_cbranch_execz .LBB50_21
; %bb.23:                               ;   in Loop: Header=BB50_22 Depth=2
	ds_cmpst_rtn_b32 v12, v12, v8, v6
	s_mov_b32 s30, -1
	s_mov_b32 s31, 0
	s_mov_b32 s29, exec_lo
	s_waitcnt lgkmcnt(0)
	v_cmpx_ne_u32_e32 -1, v12
	s_cbranch_execz .LBB50_20
; %bb.24:                               ;   in Loop: Header=BB50_22 Depth=2
	v_add_nc_u32_e32 v10, 1, v11
	s_mov_b32 s33, -1
	s_mov_b32 s31, -1
	s_mov_b32 s30, exec_lo
	v_and_b32_e32 v10, 0x3ff, v10
	v_lshl_add_u32 v12, v10, 2, v27
	ds_read_b32 v20, v12
	s_waitcnt lgkmcnt(0)
	v_cmpx_ne_u32_e64 v20, v6
	s_cbranch_execz .LBB50_19
; %bb.25:                               ;   in Loop: Header=BB50_22 Depth=2
	ds_cmpst_rtn_b32 v12, v12, v8, v6
	s_mov_b32 s35, 0
	s_mov_b32 s31, exec_lo
	s_waitcnt lgkmcnt(0)
	v_cmpx_ne_u32_e32 -1, v12
	s_cbranch_execz .LBB50_18
; %bb.26:                               ;   in Loop: Header=BB50_22 Depth=2
	v_add_nc_u32_e32 v10, 2, v11
	s_mov_b32 s36, -1
	s_mov_b32 s35, -1
	s_mov_b32 s33, exec_lo
	v_and_b32_e32 v10, 0x3ff, v10
	v_lshl_add_u32 v12, v10, 2, v27
	ds_read_b32 v20, v12
	s_waitcnt lgkmcnt(0)
	v_cmpx_ne_u32_e64 v20, v6
	s_cbranch_execz .LBB50_17
; %bb.27:                               ;   in Loop: Header=BB50_22 Depth=2
	ds_cmpst_rtn_b32 v12, v12, v8, v6
	s_mov_b32 s37, 0
	s_mov_b32 s35, exec_lo
	s_waitcnt lgkmcnt(0)
	v_cmpx_ne_u32_e32 -1, v12
	s_cbranch_execz .LBB50_16
; %bb.28:                               ;   in Loop: Header=BB50_22 Depth=2
	v_add_nc_u32_e32 v10, 3, v11
	s_mov_b32 s38, -1
	s_mov_b32 s37, -1
	v_and_b32_e32 v10, 0x3ff, v10
	v_lshl_add_u32 v12, v10, 2, v27
	ds_read_b32 v11, v12
	s_waitcnt lgkmcnt(0)
	v_cmp_ne_u32_e32 vcc_lo, v11, v6
                                        ; implicit-def: $vgpr11
	s_and_saveexec_b32 s36, vcc_lo
	s_cbranch_execz .LBB50_15
; %bb.29:                               ;   in Loop: Header=BB50_22 Depth=2
	ds_cmpst_rtn_b32 v11, v12, v8, v6
	s_mov_b32 s37, 0
	s_waitcnt lgkmcnt(0)
	v_cmp_ne_u32_e32 vcc_lo, -1, v11
                                        ; implicit-def: $vgpr11
	s_and_saveexec_b32 s39, vcc_lo
	s_cbranch_execz .LBB50_14
; %bb.30:                               ;   in Loop: Header=BB50_22 Depth=2
	v_add_nc_u32_e32 v9, -4, v9
	v_add_nc_u32_e32 v11, 1, v10
	s_mov_b32 s37, exec_lo
	v_cmp_eq_u32_e32 vcc_lo, 0, v9
	s_orn2_b32 s38, vcc_lo, exec_lo
	s_branch .LBB50_14
.LBB50_31:                              ;   in Loop: Header=BB50_13 Depth=1
	s_or_b32 exec_lo, exec_lo, s18
	s_xor_b32 s18, s19, -1
	s_and_saveexec_b32 s19, s18
	s_xor_b32 s18, exec_lo, s19
	s_cbranch_execz .LBB50_12
; %bb.32:                               ;   in Loop: Header=BB50_13 Depth=1
	v_lshl_add_u32 v6, v10, 2, v0
	ds_write_b32 v6, v5
	s_branch .LBB50_12
.LBB50_33:
	s_or_b32 exec_lo, exec_lo, s6
	s_mov_b32 s7, exec_lo
	s_waitcnt vmcnt(0) lgkmcnt(0)
	buffer_gl0_inv
	v_cmpx_lt_i32_e64 v19, v18
	s_cbranch_execz .LBB50_63
; %bb.34:
	v_add_nc_u32_e32 v28, 1, v24
	s_mov_b32 s18, 0
	s_branch .LBB50_37
.LBB50_35:                              ;   in Loop: Header=BB50_37 Depth=1
	s_or_b32 exec_lo, exec_lo, s19
	v_add_nc_u32_e32 v19, 1, v19
	v_cmp_ge_i32_e32 vcc_lo, v19, v18
	s_orn2_b32 s19, vcc_lo, exec_lo
.LBB50_36:                              ;   in Loop: Header=BB50_37 Depth=1
	s_or_b32 exec_lo, exec_lo, s6
	s_and_b32 s6, exec_lo, s19
	s_or_b32 s18, s6, s18
	s_andn2_b32 exec_lo, exec_lo, s18
	s_cbranch_execz .LBB50_63
.LBB50_37:                              ; =>This Loop Header: Depth=1
                                        ;     Child Loop BB50_38 Depth 2
                                        ;     Child Loop BB50_43 Depth 2
                                        ;       Child Loop BB50_52 Depth 3
	v_ashrrev_i32_e32 v20, 31, v19
	s_mov_b32 s6, 0
	v_lshlrev_b64 v[5:6], 2, v[19:20]
	v_lshlrev_b64 v[7:8], 4, v[19:20]
	v_add_co_u32 v5, vcc_lo, s10, v5
	v_add_co_ci_u32_e64 v6, null, s11, v6, vcc_lo
	v_add_co_u32 v20, vcc_lo, s12, v7
	v_add_co_ci_u32_e64 v21, null, s13, v8, vcc_lo
	global_load_dword v5, v[5:6], off
	s_waitcnt vmcnt(0)
	v_subrev_nc_u32_e32 v5, s34, v5
	v_ashrrev_i32_e32 v6, 31, v5
	v_lshlrev_b64 v[9:10], 2, v[5:6]
	v_add_co_u32 v11, vcc_lo, s8, v9
	v_add_co_ci_u32_e64 v12, null, s9, v10, vcc_lo
	v_add_co_u32 v22, vcc_lo, s14, v9
	v_add_co_ci_u32_e64 v23, null, s15, v10, vcc_lo
	global_load_dwordx4 v[5:8], v[20:21], off
	global_load_dword v11, v[11:12], off offset:4
	global_load_dword v12, v[22:23], off
	v_add_co_u32 v9, vcc_lo, s16, v9
	v_add_co_ci_u32_e64 v10, null, s17, v10, vcc_lo
.LBB50_38:                              ;   Parent Loop BB50_37 Depth=1
                                        ; =>  This Inner Loop Header: Depth=2
	global_load_dword v22, v[9:10], off glc dlc
	s_waitcnt vmcnt(0)
	v_cmp_ne_u32_e32 vcc_lo, 0, v22
	s_or_b32 s6, vcc_lo, s6
	s_andn2_b32 exec_lo, exec_lo, s6
	s_cbranch_execnz .LBB50_38
; %bb.39:                               ;   in Loop: Header=BB50_37 Depth=1
	s_or_b32 exec_lo, exec_lo, s6
	v_subrev_nc_u32_e32 v29, s34, v11
	v_cmp_eq_u32_e32 vcc_lo, -1, v12
	buffer_gl1_inv
	buffer_gl0_inv
	s_mov_b32 s19, -1
	v_add_nc_u32_e32 v9, -1, v29
	v_cndmask_b32_e32 v22, v12, v9, vcc_lo
	v_ashrrev_i32_e32 v23, 31, v22
	v_lshlrev_b64 v[9:10], 4, v[22:23]
	v_add_co_u32 v9, vcc_lo, s12, v9
	v_add_co_ci_u32_e64 v10, null, s13, v10, vcc_lo
	global_load_dwordx4 v[9:12], v[9:10], off
	s_waitcnt vmcnt(0)
	v_cmp_neq_f64_e32 vcc_lo, 0, v[9:10]
	v_cmp_neq_f64_e64 s6, 0, v[11:12]
	s_or_b32 s26, vcc_lo, s6
	s_and_saveexec_b32 s6, s26
	s_cbranch_execz .LBB50_36
; %bb.40:                               ;   in Loop: Header=BB50_37 Depth=1
	v_mul_f64 v[30:31], v[11:12], v[11:12]
	s_mov_b32 s19, exec_lo
	v_fma_f64 v[30:31], v[9:10], v[9:10], v[30:31]
	v_div_scale_f64 v[32:33], null, v[30:31], v[30:31], 1.0
	v_div_scale_f64 v[38:39], vcc_lo, 1.0, v[30:31], 1.0
	v_rcp_f64_e32 v[34:35], v[32:33]
	v_fma_f64 v[36:37], -v[32:33], v[34:35], 1.0
	v_fma_f64 v[34:35], v[34:35], v[36:37], v[34:35]
	v_fma_f64 v[36:37], -v[32:33], v[34:35], 1.0
	v_fma_f64 v[34:35], v[34:35], v[36:37], v[34:35]
	v_mul_f64 v[36:37], v[38:39], v[34:35]
	v_fma_f64 v[32:33], -v[32:33], v[36:37], v[38:39]
	v_mul_f64 v[38:39], v[7:8], v[11:12]
	v_mul_f64 v[11:12], v[11:12], -v[5:6]
	v_div_fmas_f64 v[32:33], v[32:33], v[34:35], v[36:37]
	v_fma_f64 v[5:6], v[5:6], v[9:10], v[38:39]
	v_fma_f64 v[7:8], v[7:8], v[9:10], v[11:12]
	v_add_nc_u32_e32 v9, v28, v22
	v_div_fixup_f64 v[30:31], v[32:33], v[30:31], 1.0
	v_mul_f64 v[5:6], v[5:6], v[30:31]
	v_mul_f64 v[7:8], v[7:8], v[30:31]
	global_store_dwordx4 v[20:21], v[5:8], off
	v_cmpx_lt_i32_e64 v9, v29
	s_cbranch_execz .LBB50_35
; %bb.41:                               ;   in Loop: Header=BB50_37 Depth=1
	s_mov_b32 s26, 0
	s_branch .LBB50_43
.LBB50_42:                              ;   in Loop: Header=BB50_43 Depth=2
	s_or_b32 exec_lo, exec_lo, s27
	v_add_nc_u32_e32 v9, 64, v9
	v_cmp_ge_i32_e32 vcc_lo, v9, v29
	s_or_b32 s26, vcc_lo, s26
	s_andn2_b32 exec_lo, exec_lo, s26
	s_cbranch_execz .LBB50_35
.LBB50_43:                              ;   Parent Loop BB50_37 Depth=1
                                        ; =>  This Loop Header: Depth=2
                                        ;       Child Loop BB50_52 Depth 3
	v_ashrrev_i32_e32 v10, 31, v9
	s_mov_b32 s27, 0
                                        ; implicit-def: $sgpr28
                                        ; implicit-def: $sgpr29
                                        ; implicit-def: $sgpr30
	v_lshlrev_b64 v[11:12], 2, v[9:10]
	v_add_co_u32 v11, vcc_lo, s10, v11
	v_add_co_ci_u32_e64 v12, null, s11, v12, vcc_lo
	global_load_dword v11, v[11:12], off
	v_mov_b32_e32 v12, 0x400
	s_waitcnt vmcnt(0)
	v_mul_lo_u32 v21, 0x67, v11
	s_branch .LBB50_52
.LBB50_44:                              ;   in Loop: Header=BB50_52 Depth=3
	s_or_b32 exec_lo, exec_lo, s42
	s_orn2_b32 s40, s40, exec_lo
	s_orn2_b32 s41, s41, exec_lo
.LBB50_45:                              ;   in Loop: Header=BB50_52 Depth=3
	s_or_b32 exec_lo, exec_lo, s39
	s_and_b32 s40, s40, exec_lo
	s_orn2_b32 s39, s41, exec_lo
.LBB50_46:                              ;   in Loop: Header=BB50_52 Depth=3
	s_or_b32 exec_lo, exec_lo, s38
	s_orn2_b32 s38, s40, exec_lo
	s_orn2_b32 s39, s39, exec_lo
.LBB50_47:                              ;   in Loop: Header=BB50_52 Depth=3
	s_or_b32 exec_lo, exec_lo, s37
	s_and_b32 s38, s38, exec_lo
	s_orn2_b32 s37, s39, exec_lo
.LBB50_48:                              ;   in Loop: Header=BB50_52 Depth=3
	s_or_b32 exec_lo, exec_lo, s36
	s_orn2_b32 s36, s38, exec_lo
	s_orn2_b32 s37, s37, exec_lo
.LBB50_49:                              ;   in Loop: Header=BB50_52 Depth=3
	s_or_b32 exec_lo, exec_lo, s35
	s_and_b32 s36, s36, exec_lo
	s_orn2_b32 s35, s37, exec_lo
.LBB50_50:                              ;   in Loop: Header=BB50_52 Depth=3
	s_or_b32 exec_lo, exec_lo, s33
	s_andn2_b32 s30, s30, exec_lo
	s_and_b32 s33, s36, exec_lo
	s_andn2_b32 s29, s29, exec_lo
	s_and_b32 s35, s35, exec_lo
	s_or_b32 s30, s30, s33
	s_or_b32 s29, s29, s35
.LBB50_51:                              ;   in Loop: Header=BB50_52 Depth=3
	s_or_b32 exec_lo, exec_lo, s31
	s_and_b32 s31, exec_lo, s29
	s_or_b32 s27, s31, s27
	s_andn2_b32 s28, s28, exec_lo
	s_and_b32 s31, s30, exec_lo
	s_or_b32 s28, s28, s31
	s_andn2_b32 exec_lo, exec_lo, s27
	s_cbranch_execz .LBB50_61
.LBB50_52:                              ;   Parent Loop BB50_37 Depth=1
                                        ;     Parent Loop BB50_43 Depth=2
                                        ; =>    This Inner Loop Header: Depth=3
	v_and_b32_e32 v20, 0x3ff, v21
	s_or_b32 s30, s30, exec_lo
	s_or_b32 s29, s29, exec_lo
	s_mov_b32 s31, exec_lo
	v_lshl_add_u32 v22, v20, 2, v27
	ds_read_b32 v22, v22
	s_waitcnt lgkmcnt(0)
	v_cmpx_ne_u32_e32 -1, v22
	s_cbranch_execz .LBB50_51
; %bb.53:                               ;   in Loop: Header=BB50_52 Depth=3
	s_mov_b32 s35, -1
	s_mov_b32 s36, 0
	s_mov_b32 s33, exec_lo
	v_cmpx_ne_u32_e64 v22, v11
	s_cbranch_execz .LBB50_50
; %bb.54:                               ;   in Loop: Header=BB50_52 Depth=3
	v_add_nc_u32_e32 v20, 1, v21
	s_mov_b32 s37, -1
	s_mov_b32 s36, -1
	s_mov_b32 s35, exec_lo
	v_and_b32_e32 v20, 0x3ff, v20
	v_lshl_add_u32 v22, v20, 2, v27
	ds_read_b32 v22, v22
	s_waitcnt lgkmcnt(0)
	v_cmpx_ne_u32_e32 -1, v22
	s_cbranch_execz .LBB50_49
; %bb.55:                               ;   in Loop: Header=BB50_52 Depth=3
	s_mov_b32 s38, 0
	s_mov_b32 s36, exec_lo
	v_cmpx_ne_u32_e64 v22, v11
	s_cbranch_execz .LBB50_48
; %bb.56:                               ;   in Loop: Header=BB50_52 Depth=3
	v_add_nc_u32_e32 v20, 2, v21
	s_mov_b32 s39, -1
	s_mov_b32 s38, -1
	s_mov_b32 s37, exec_lo
	v_and_b32_e32 v20, 0x3ff, v20
	v_lshl_add_u32 v22, v20, 2, v27
	ds_read_b32 v22, v22
	s_waitcnt lgkmcnt(0)
	v_cmpx_ne_u32_e32 -1, v22
	s_cbranch_execz .LBB50_47
; %bb.57:                               ;   in Loop: Header=BB50_52 Depth=3
	s_mov_b32 s40, 0
	s_mov_b32 s38, exec_lo
	v_cmpx_ne_u32_e64 v22, v11
	s_cbranch_execz .LBB50_46
; %bb.58:                               ;   in Loop: Header=BB50_52 Depth=3
	v_add_nc_u32_e32 v20, 3, v21
	s_mov_b32 s41, -1
	s_mov_b32 s40, -1
	s_mov_b32 s39, exec_lo
	v_and_b32_e32 v20, 0x3ff, v20
	v_lshl_add_u32 v21, v20, 2, v27
	ds_read_b32 v22, v21
                                        ; implicit-def: $vgpr21
	s_waitcnt lgkmcnt(0)
	v_cmpx_ne_u32_e32 -1, v22
	s_cbranch_execz .LBB50_45
; %bb.59:                               ;   in Loop: Header=BB50_52 Depth=3
	s_mov_b32 s40, 0
	s_mov_b32 s42, exec_lo
                                        ; implicit-def: $vgpr21
	v_cmpx_ne_u32_e64 v22, v11
	s_cbranch_execz .LBB50_44
; %bb.60:                               ;   in Loop: Header=BB50_52 Depth=3
	v_add_nc_u32_e32 v12, -4, v12
	v_add_nc_u32_e32 v21, 1, v20
	s_mov_b32 s40, exec_lo
	v_cmp_eq_u32_e32 vcc_lo, 0, v12
	s_orn2_b32 s41, vcc_lo, exec_lo
	s_branch .LBB50_44
.LBB50_61:                              ;   in Loop: Header=BB50_43 Depth=2
	s_or_b32 exec_lo, exec_lo, s27
	s_xor_b32 s27, s28, -1
	s_and_saveexec_b32 s28, s27
	s_xor_b32 s27, exec_lo, s28
	s_cbranch_execz .LBB50_42
; %bb.62:                               ;   in Loop: Header=BB50_43 Depth=2
	v_lshl_add_u32 v11, v20, 2, v0
	v_lshlrev_b64 v[20:21], 4, v[9:10]
	ds_read_b32 v11, v11
	v_add_co_u32 v20, vcc_lo, s12, v20
	v_add_co_ci_u32_e64 v21, null, s13, v21, vcc_lo
	s_waitcnt lgkmcnt(0)
	v_ashrrev_i32_e32 v12, 31, v11
	v_lshlrev_b64 v[10:11], 4, v[11:12]
	v_add_co_u32 v10, vcc_lo, s12, v10
	v_add_co_ci_u32_e64 v11, null, s13, v11, vcc_lo
	s_clause 0x1
	global_load_dwordx4 v[20:23], v[20:21], off
	global_load_dwordx4 v[30:33], v[10:11], off
	s_waitcnt vmcnt(0)
	v_fma_f64 v[30:31], -v[5:6], v[20:21], v[30:31]
	v_fma_f64 v[32:33], -v[7:8], v[20:21], v[32:33]
	v_fma_f64 v[20:21], v[7:8], v[22:23], v[30:31]
	v_fma_f64 v[22:23], -v[5:6], v[22:23], v[32:33]
	global_store_dwordx4 v[10:11], v[20:23], off
	s_branch .LBB50_42
.LBB50_63:
	s_or_b32 exec_lo, exec_lo, s7
	s_mov_b32 s7, exec_lo
	s_waitcnt_vscnt null, 0x0
	buffer_gl0_inv
	v_cmpx_lt_i32_e32 -1, v18
	s_cbranch_execz .LBB50_85
; %bb.64:
	v_mov_b32_e32 v19, 0
	s_mov_b32 s6, exec_lo
	v_lshlrev_b64 v[5:6], 4, v[18:19]
	v_add_co_u32 v9, vcc_lo, s12, v5
	v_add_co_ci_u32_e64 v10, null, s13, v6, vcc_lo
	global_load_dwordx4 v[5:8], v[9:10], off
	s_waitcnt vmcnt(0)
	v_cmp_gt_f64_e32 vcc_lo, 0, v[5:6]
	v_xor_b32_e32 v0, 0x80000000, v6
	v_xor_b32_e32 v18, 0x80000000, v8
	v_mov_b32_e32 v11, v5
	v_mov_b32_e32 v20, v7
	v_cndmask_b32_e32 v12, v6, v0, vcc_lo
	v_cmp_gt_f64_e32 vcc_lo, 0, v[7:8]
	v_cndmask_b32_e32 v21, v8, v18, vcc_lo
                                        ; implicit-def: $vgpr18_vgpr19
	v_cmpx_ngt_f64_e32 v[11:12], v[20:21]
	s_xor_b32 s6, exec_lo, s6
	s_cbranch_execz .LBB50_68
; %bb.65:
	v_mov_b32_e32 v18, 0
	v_mov_b32_e32 v19, 0
	s_mov_b32 s8, exec_lo
	v_cmpx_neq_f64_e32 0, v[7:8]
	s_cbranch_execz .LBB50_67
; %bb.66:
	v_div_scale_f64 v[18:19], null, v[20:21], v[20:21], v[11:12]
	v_div_scale_f64 v[29:30], vcc_lo, v[11:12], v[20:21], v[11:12]
	v_rcp_f64_e32 v[22:23], v[18:19]
	v_fma_f64 v[27:28], -v[18:19], v[22:23], 1.0
	v_fma_f64 v[22:23], v[22:23], v[27:28], v[22:23]
	v_fma_f64 v[27:28], -v[18:19], v[22:23], 1.0
	v_fma_f64 v[22:23], v[22:23], v[27:28], v[22:23]
	v_mul_f64 v[27:28], v[29:30], v[22:23]
	v_fma_f64 v[18:19], -v[18:19], v[27:28], v[29:30]
	v_div_fmas_f64 v[18:19], v[18:19], v[22:23], v[27:28]
	v_div_fixup_f64 v[11:12], v[18:19], v[20:21], v[11:12]
	v_fma_f64 v[11:12], v[11:12], v[11:12], 1.0
	v_cmp_gt_f64_e32 vcc_lo, 0x10000000, v[11:12]
	v_cndmask_b32_e64 v0, 0, 0x100, vcc_lo
	v_ldexp_f64 v[11:12], v[11:12], v0
	v_cndmask_b32_e64 v0, 0, 0xffffff80, vcc_lo
	v_rsq_f64_e32 v[18:19], v[11:12]
	v_cmp_class_f64_e64 vcc_lo, v[11:12], 0x260
	v_mul_f64 v[22:23], v[11:12], v[18:19]
	v_mul_f64 v[18:19], v[18:19], 0.5
	v_fma_f64 v[27:28], -v[18:19], v[22:23], 0.5
	v_fma_f64 v[22:23], v[22:23], v[27:28], v[22:23]
	v_fma_f64 v[18:19], v[18:19], v[27:28], v[18:19]
	v_fma_f64 v[27:28], -v[22:23], v[22:23], v[11:12]
	v_fma_f64 v[22:23], v[27:28], v[18:19], v[22:23]
	v_fma_f64 v[27:28], -v[22:23], v[22:23], v[11:12]
	v_fma_f64 v[18:19], v[27:28], v[18:19], v[22:23]
	v_ldexp_f64 v[18:19], v[18:19], v0
	v_cndmask_b32_e32 v12, v19, v12, vcc_lo
	v_cndmask_b32_e32 v11, v18, v11, vcc_lo
	v_mul_f64 v[18:19], v[20:21], v[11:12]
.LBB50_67:
	s_or_b32 exec_lo, exec_lo, s8
                                        ; implicit-def: $vgpr11_vgpr12
                                        ; implicit-def: $vgpr20_vgpr21
.LBB50_68:
	s_andn2_saveexec_b32 s6, s6
	s_cbranch_execz .LBB50_70
; %bb.69:
	v_div_scale_f64 v[18:19], null, v[11:12], v[11:12], v[20:21]
	v_div_scale_f64 v[29:30], vcc_lo, v[20:21], v[11:12], v[20:21]
	v_rcp_f64_e32 v[22:23], v[18:19]
	v_fma_f64 v[27:28], -v[18:19], v[22:23], 1.0
	v_fma_f64 v[22:23], v[22:23], v[27:28], v[22:23]
	v_fma_f64 v[27:28], -v[18:19], v[22:23], 1.0
	v_fma_f64 v[22:23], v[22:23], v[27:28], v[22:23]
	v_mul_f64 v[27:28], v[29:30], v[22:23]
	v_fma_f64 v[18:19], -v[18:19], v[27:28], v[29:30]
	v_div_fmas_f64 v[18:19], v[18:19], v[22:23], v[27:28]
	v_div_fixup_f64 v[18:19], v[18:19], v[11:12], v[20:21]
	v_fma_f64 v[18:19], v[18:19], v[18:19], 1.0
	v_cmp_gt_f64_e32 vcc_lo, 0x10000000, v[18:19]
	v_cndmask_b32_e64 v0, 0, 0x100, vcc_lo
	v_ldexp_f64 v[18:19], v[18:19], v0
	v_cndmask_b32_e64 v0, 0, 0xffffff80, vcc_lo
	v_rsq_f64_e32 v[20:21], v[18:19]
	v_cmp_class_f64_e64 vcc_lo, v[18:19], 0x260
	v_mul_f64 v[22:23], v[18:19], v[20:21]
	v_mul_f64 v[20:21], v[20:21], 0.5
	v_fma_f64 v[27:28], -v[20:21], v[22:23], 0.5
	v_fma_f64 v[22:23], v[22:23], v[27:28], v[22:23]
	v_fma_f64 v[20:21], v[20:21], v[27:28], v[20:21]
	v_fma_f64 v[27:28], -v[22:23], v[22:23], v[18:19]
	v_fma_f64 v[22:23], v[27:28], v[20:21], v[22:23]
	v_fma_f64 v[27:28], -v[22:23], v[22:23], v[18:19]
	v_fma_f64 v[20:21], v[27:28], v[20:21], v[22:23]
	v_ldexp_f64 v[20:21], v[20:21], v0
	v_cndmask_b32_e32 v19, v21, v19, vcc_lo
	v_cndmask_b32_e32 v18, v20, v18, vcc_lo
	v_mul_f64 v[18:19], v[11:12], v[18:19]
.LBB50_70:
	s_or_b32 exec_lo, exec_lo, s6
	v_cmp_ne_u32_e32 vcc_lo, 1, v26
	v_cmp_eq_u32_e64 s6, 0, v24
	s_mov_b32 s8, -1
	s_cbranch_vccnz .LBB50_74
; %bb.71:
	v_cvt_f64_f32_e32 v[11:12], v25
	s_cmp_eq_u64 s[24:25], 8
	s_cselect_b32 vcc_lo, -1, 0
	v_cndmask_b32_e32 v12, v12, v16, vcc_lo
	v_cndmask_b32_e32 v11, v11, v15, vcc_lo
	v_cmp_le_f64_e32 vcc_lo, v[18:19], v[11:12]
	s_and_b32 s9, s6, vcc_lo
	s_and_saveexec_b32 s8, s9
	s_cbranch_execz .LBB50_73
; %bb.72:
	global_store_dwordx4 v[9:10], v[1:4], off
	s_waitcnt_vscnt null, 0x0
	buffer_gl1_inv
	buffer_gl0_inv
.LBB50_73:
	s_or_b32 exec_lo, exec_lo, s8
	s_mov_b32 s8, 0
.LBB50_74:
	s_andn2_b32 vcc_lo, exec_lo, s8
	s_cbranch_vccnz .LBB50_85
; %bb.75:
	s_load_dwordx2 s[4:5], s[4:5], 0x48
	v_add_nc_u32_e32 v0, s34, v17
	s_waitcnt lgkmcnt(0)
	v_cmp_ge_f64_e32 vcc_lo, s[4:5], v[18:19]
	s_and_b32 s5, s6, vcc_lo
	s_and_saveexec_b32 s4, s5
	s_cbranch_execz .LBB50_80
; %bb.76:
	s_mov_b32 s8, exec_lo
	s_brev_b32 s5, -2
.LBB50_77:                              ; =>This Inner Loop Header: Depth=1
	s_ff1_i32_b32 s9, s8
	v_readlane_b32 s10, v0, s9
	s_lshl_b32 s9, 1, s9
	s_andn2_b32 s8, s8, s9
	s_min_i32 s5, s5, s10
	s_cmp_lg_u32 s8, 0
	s_cbranch_scc1 .LBB50_77
; %bb.78:
	v_mbcnt_lo_u32_b32 v1, exec_lo, 0
	s_mov_b32 s8, exec_lo
	v_cmpx_eq_u32_e32 0, v1
	s_xor_b32 s8, exec_lo, s8
	s_cbranch_execz .LBB50_80
; %bb.79:
	v_mov_b32_e32 v1, 0
	v_mov_b32_e32 v2, s5
	global_atomic_smin v1, v2, s[22:23]
.LBB50_80:
	s_or_b32 exec_lo, exec_lo, s4
	v_cmp_eq_f64_e32 vcc_lo, 0, v[5:6]
	v_cmp_eq_f64_e64 s4, 0, v[7:8]
	s_and_b32 s4, vcc_lo, s4
	s_and_b32 s4, s6, s4
	s_and_b32 exec_lo, exec_lo, s4
	s_cbranch_execz .LBB50_85
; %bb.81:
	s_mov_b32 s5, exec_lo
	s_brev_b32 s4, -2
.LBB50_82:                              ; =>This Inner Loop Header: Depth=1
	s_ff1_i32_b32 s6, s5
	v_readlane_b32 s8, v0, s6
	s_lshl_b32 s6, 1, s6
	s_andn2_b32 s5, s5, s6
	s_min_i32 s4, s4, s8
	s_cmp_lg_u32 s5, 0
	s_cbranch_scc1 .LBB50_82
; %bb.83:
	v_mbcnt_lo_u32_b32 v0, exec_lo, 0
	s_mov_b32 s5, exec_lo
	v_cmpx_eq_u32_e32 0, v0
	s_xor_b32 s5, exec_lo, s5
	s_cbranch_execz .LBB50_85
; %bb.84:
	v_mov_b32_e32 v0, 0
	v_mov_b32_e32 v1, s4
	global_atomic_smin v0, v1, s[20:21]
.LBB50_85:
	s_or_b32 exec_lo, exec_lo, s7
	v_cmp_eq_u32_e32 vcc_lo, 0, v24
	s_waitcnt_vscnt null, 0x0
	buffer_gl1_inv
	buffer_gl0_inv
	s_and_b32 exec_lo, exec_lo, vcc_lo
	s_cbranch_execz .LBB50_87
; %bb.86:
	v_add_co_u32 v0, vcc_lo, s16, v13
	v_add_co_ci_u32_e64 v1, null, s17, v14, vcc_lo
	v_mov_b32_e32 v2, 1
	global_store_dword v[0:1], v2, off
.LBB50_87:
	s_endpgm
	.section	.rodata,"a",@progbits
	.p2align	6, 0x0
	.amdhsa_kernel _ZN9rocsparseL12csrilu0_hashILj256ELj64ELj16E21rocsparse_complex_numIdEEEviPKiS4_PT2_S4_PiS4_S7_S7_d21rocsparse_index_base_imNS_24const_host_device_scalarIfEENS9_IdEENS9_IS5_EEb
		.amdhsa_group_segment_fixed_size 32768
		.amdhsa_private_segment_fixed_size 16
		.amdhsa_kernarg_size 132
		.amdhsa_user_sgpr_count 8
		.amdhsa_user_sgpr_private_segment_buffer 1
		.amdhsa_user_sgpr_dispatch_ptr 0
		.amdhsa_user_sgpr_queue_ptr 0
		.amdhsa_user_sgpr_kernarg_segment_ptr 1
		.amdhsa_user_sgpr_dispatch_id 0
		.amdhsa_user_sgpr_flat_scratch_init 1
		.amdhsa_user_sgpr_private_segment_size 0
		.amdhsa_wavefront_size32 1
		.amdhsa_uses_dynamic_stack 0
		.amdhsa_system_sgpr_private_segment_wavefront_offset 1
		.amdhsa_system_sgpr_workgroup_id_x 1
		.amdhsa_system_sgpr_workgroup_id_y 0
		.amdhsa_system_sgpr_workgroup_id_z 0
		.amdhsa_system_sgpr_workgroup_info 0
		.amdhsa_system_vgpr_workitem_id 0
		.amdhsa_next_free_vgpr 113
		.amdhsa_next_free_sgpr 43
		.amdhsa_reserve_vcc 1
		.amdhsa_reserve_flat_scratch 1
		.amdhsa_float_round_mode_32 0
		.amdhsa_float_round_mode_16_64 0
		.amdhsa_float_denorm_mode_32 3
		.amdhsa_float_denorm_mode_16_64 3
		.amdhsa_dx10_clamp 1
		.amdhsa_ieee_mode 1
		.amdhsa_fp16_overflow 0
		.amdhsa_workgroup_processor_mode 1
		.amdhsa_memory_ordered 1
		.amdhsa_forward_progress 1
		.amdhsa_shared_vgpr_count 0
		.amdhsa_exception_fp_ieee_invalid_op 0
		.amdhsa_exception_fp_denorm_src 0
		.amdhsa_exception_fp_ieee_div_zero 0
		.amdhsa_exception_fp_ieee_overflow 0
		.amdhsa_exception_fp_ieee_underflow 0
		.amdhsa_exception_fp_ieee_inexact 0
		.amdhsa_exception_int_div_zero 0
	.end_amdhsa_kernel
	.section	.text._ZN9rocsparseL12csrilu0_hashILj256ELj64ELj16E21rocsparse_complex_numIdEEEviPKiS4_PT2_S4_PiS4_S7_S7_d21rocsparse_index_base_imNS_24const_host_device_scalarIfEENS9_IdEENS9_IS5_EEb,"axG",@progbits,_ZN9rocsparseL12csrilu0_hashILj256ELj64ELj16E21rocsparse_complex_numIdEEEviPKiS4_PT2_S4_PiS4_S7_S7_d21rocsparse_index_base_imNS_24const_host_device_scalarIfEENS9_IdEENS9_IS5_EEb,comdat
.Lfunc_end50:
	.size	_ZN9rocsparseL12csrilu0_hashILj256ELj64ELj16E21rocsparse_complex_numIdEEEviPKiS4_PT2_S4_PiS4_S7_S7_d21rocsparse_index_base_imNS_24const_host_device_scalarIfEENS9_IdEENS9_IS5_EEb, .Lfunc_end50-_ZN9rocsparseL12csrilu0_hashILj256ELj64ELj16E21rocsparse_complex_numIdEEEviPKiS4_PT2_S4_PiS4_S7_S7_d21rocsparse_index_base_imNS_24const_host_device_scalarIfEENS9_IdEENS9_IS5_EEb
                                        ; -- End function
	.set _ZN9rocsparseL12csrilu0_hashILj256ELj64ELj16E21rocsparse_complex_numIdEEEviPKiS4_PT2_S4_PiS4_S7_S7_d21rocsparse_index_base_imNS_24const_host_device_scalarIfEENS9_IdEENS9_IS5_EEb.num_vgpr, 40
	.set _ZN9rocsparseL12csrilu0_hashILj256ELj64ELj16E21rocsparse_complex_numIdEEEviPKiS4_PT2_S4_PiS4_S7_S7_d21rocsparse_index_base_imNS_24const_host_device_scalarIfEENS9_IdEENS9_IS5_EEb.num_agpr, 0
	.set _ZN9rocsparseL12csrilu0_hashILj256ELj64ELj16E21rocsparse_complex_numIdEEEviPKiS4_PT2_S4_PiS4_S7_S7_d21rocsparse_index_base_imNS_24const_host_device_scalarIfEENS9_IdEENS9_IS5_EEb.numbered_sgpr, 43
	.set _ZN9rocsparseL12csrilu0_hashILj256ELj64ELj16E21rocsparse_complex_numIdEEEviPKiS4_PT2_S4_PiS4_S7_S7_d21rocsparse_index_base_imNS_24const_host_device_scalarIfEENS9_IdEENS9_IS5_EEb.num_named_barrier, 0
	.set _ZN9rocsparseL12csrilu0_hashILj256ELj64ELj16E21rocsparse_complex_numIdEEEviPKiS4_PT2_S4_PiS4_S7_S7_d21rocsparse_index_base_imNS_24const_host_device_scalarIfEENS9_IdEENS9_IS5_EEb.private_seg_size, 16
	.set _ZN9rocsparseL12csrilu0_hashILj256ELj64ELj16E21rocsparse_complex_numIdEEEviPKiS4_PT2_S4_PiS4_S7_S7_d21rocsparse_index_base_imNS_24const_host_device_scalarIfEENS9_IdEENS9_IS5_EEb.uses_vcc, 1
	.set _ZN9rocsparseL12csrilu0_hashILj256ELj64ELj16E21rocsparse_complex_numIdEEEviPKiS4_PT2_S4_PiS4_S7_S7_d21rocsparse_index_base_imNS_24const_host_device_scalarIfEENS9_IdEENS9_IS5_EEb.uses_flat_scratch, 1
	.set _ZN9rocsparseL12csrilu0_hashILj256ELj64ELj16E21rocsparse_complex_numIdEEEviPKiS4_PT2_S4_PiS4_S7_S7_d21rocsparse_index_base_imNS_24const_host_device_scalarIfEENS9_IdEENS9_IS5_EEb.has_dyn_sized_stack, 0
	.set _ZN9rocsparseL12csrilu0_hashILj256ELj64ELj16E21rocsparse_complex_numIdEEEviPKiS4_PT2_S4_PiS4_S7_S7_d21rocsparse_index_base_imNS_24const_host_device_scalarIfEENS9_IdEENS9_IS5_EEb.has_recursion, 0
	.set _ZN9rocsparseL12csrilu0_hashILj256ELj64ELj16E21rocsparse_complex_numIdEEEviPKiS4_PT2_S4_PiS4_S7_S7_d21rocsparse_index_base_imNS_24const_host_device_scalarIfEENS9_IdEENS9_IS5_EEb.has_indirect_call, 0
	.section	.AMDGPU.csdata,"",@progbits
; Kernel info:
; codeLenInByte = 3520
; TotalNumSgprs: 45
; NumVgprs: 40
; ScratchSize: 16
; MemoryBound: 0
; FloatMode: 240
; IeeeMode: 1
; LDSByteSize: 32768 bytes/workgroup (compile time only)
; SGPRBlocks: 0
; VGPRBlocks: 14
; NumSGPRsForWavesPerEU: 45
; NumVGPRsForWavesPerEU: 113
; Occupancy: 8
; WaveLimiterHint : 1
; COMPUTE_PGM_RSRC2:SCRATCH_EN: 1
; COMPUTE_PGM_RSRC2:USER_SGPR: 8
; COMPUTE_PGM_RSRC2:TRAP_HANDLER: 0
; COMPUTE_PGM_RSRC2:TGID_X_EN: 1
; COMPUTE_PGM_RSRC2:TGID_Y_EN: 0
; COMPUTE_PGM_RSRC2:TGID_Z_EN: 0
; COMPUTE_PGM_RSRC2:TIDIG_COMP_CNT: 0
	.section	.text._ZN9rocsparseL17csrilu0_binsearchILj256ELj64ELb0E21rocsparse_complex_numIdEEEviPKiS4_PT2_S4_PiS4_S7_S7_d21rocsparse_index_base_imNS_24const_host_device_scalarIfEENS9_IdEENS9_IS5_EEb,"axG",@progbits,_ZN9rocsparseL17csrilu0_binsearchILj256ELj64ELb0E21rocsparse_complex_numIdEEEviPKiS4_PT2_S4_PiS4_S7_S7_d21rocsparse_index_base_imNS_24const_host_device_scalarIfEENS9_IdEENS9_IS5_EEb,comdat
	.globl	_ZN9rocsparseL17csrilu0_binsearchILj256ELj64ELb0E21rocsparse_complex_numIdEEEviPKiS4_PT2_S4_PiS4_S7_S7_d21rocsparse_index_base_imNS_24const_host_device_scalarIfEENS9_IdEENS9_IS5_EEb ; -- Begin function _ZN9rocsparseL17csrilu0_binsearchILj256ELj64ELb0E21rocsparse_complex_numIdEEEviPKiS4_PT2_S4_PiS4_S7_S7_d21rocsparse_index_base_imNS_24const_host_device_scalarIfEENS9_IdEENS9_IS5_EEb
	.p2align	8
	.type	_ZN9rocsparseL17csrilu0_binsearchILj256ELj64ELb0E21rocsparse_complex_numIdEEEviPKiS4_PT2_S4_PiS4_S7_S7_d21rocsparse_index_base_imNS_24const_host_device_scalarIfEENS9_IdEENS9_IS5_EEb,@function
_ZN9rocsparseL17csrilu0_binsearchILj256ELj64ELb0E21rocsparse_complex_numIdEEEviPKiS4_PT2_S4_PiS4_S7_S7_d21rocsparse_index_base_imNS_24const_host_device_scalarIfEENS9_IdEENS9_IS5_EEb: ; @_ZN9rocsparseL17csrilu0_binsearchILj256ELj64ELb0E21rocsparse_complex_numIdEEEviPKiS4_PT2_S4_PiS4_S7_S7_d21rocsparse_index_base_imNS_24const_host_device_scalarIfEENS9_IdEENS9_IS5_EEb
; %bb.0:
	s_add_u32 s6, s6, s9
	s_addc_u32 s7, s7, 0
	s_setreg_b32 hwreg(HW_REG_FLAT_SCR_LO), s6
	s_setreg_b32 hwreg(HW_REG_FLAT_SCR_HI), s7
	s_add_u32 s0, s0, s9
	s_clause 0x3
	s_load_dword s9, s[4:5], 0x80
	s_load_dwordx2 s[34:35], s[4:5], 0x50
	s_load_dwordx8 s[24:31], s[4:5], 0x58
	s_load_dwordx2 s[6:7], s[4:5], 0x78
	s_addc_u32 s1, s1, 0
	s_waitcnt lgkmcnt(0)
	s_bitcmp1_b32 s9, 0
	s_cselect_b32 s9, -1, 0
	s_cmp_eq_u32 s35, 0
	v_mov_b32_e32 v1, s31
	s_cselect_b32 s14, -1, 0
	s_cmp_lg_u32 s35, 0
	v_mov_b32_e32 v2, s30
	s_cselect_b32 s12, -1, 0
	s_or_b32 s15, s14, s9
	buffer_store_dword v1, off, s[0:3], 0 offset:4
	s_xor_b32 s13, s15, -1
	s_and_b32 s10, s14, exec_lo
	s_cselect_b32 s11, 0, s29
	s_cselect_b32 s10, 0, s28
	s_and_b32 vcc_lo, exec_lo, s15
	buffer_store_dword v2, off, s[0:3], 0
	s_cbranch_vccnz .LBB51_2
; %bb.1:
	s_load_dword s10, s[26:27], 0x0
	s_waitcnt lgkmcnt(0)
	v_mov_b32_e32 v24, s10
	s_mov_b64 s[10:11], s[28:29]
	v_mov_b32_e32 v16, s11
	v_mov_b32_e32 v15, s10
	s_andn2_b32 vcc_lo, exec_lo, s13
	s_cbranch_vccz .LBB51_3
	s_branch .LBB51_4
.LBB51_2:
	v_cndmask_b32_e64 v24, s26, 0, s14
	v_mov_b32_e32 v16, s11
	v_mov_b32_e32 v15, s10
	s_andn2_b32 vcc_lo, exec_lo, s13
	s_cbranch_vccnz .LBB51_4
.LBB51_3:
	v_mov_b32_e32 v1, s28
	v_mov_b32_e32 v2, s29
	flat_load_dwordx2 v[15:16], v[1:2]
.LBB51_4:
	v_mov_b32_e32 v1, 0
	v_mov_b32_e32 v3, 0
	v_cndmask_b32_e64 v25, 0, 1, s12
	v_mov_b32_e32 v2, 0
	v_mov_b32_e32 v4, 0
	s_andn2_b32 vcc_lo, exec_lo, s12
	s_cbranch_vccnz .LBB51_7
; %bb.5:
	s_mov_b64 s[10:11], src_private_base
	s_xor_b32 s10, s9, -1
	s_and_b32 s9, s9, exec_lo
	s_cselect_b32 s9, 0, s30
	s_cselect_b32 s11, s11, s31
	v_mov_b32_e32 v1, s9
	v_mov_b32_e32 v2, s11
	;; [unrolled: 1-line block ×4, first 2 shown]
	s_andn2_b32 vcc_lo, exec_lo, s10
	flat_load_dwordx2 v[1:2], v[1:2]
	s_cbranch_vccnz .LBB51_7
; %bb.6:
	v_mov_b32_e32 v3, s30
	v_mov_b32_e32 v4, s31
	flat_load_dwordx2 v[3:4], v[3:4] offset:8
.LBB51_7:
	s_load_dword s6, s[4:5], 0x0
	v_lshrrev_b32_e32 v5, 6, v0
	s_lshl_b32 s7, s8, 2
	v_and_or_b32 v5, 0x3fffffc, s7, v5
	s_waitcnt lgkmcnt(0)
	v_cmp_gt_i32_e32 vcc_lo, s6, v5
	s_and_saveexec_b32 s6, vcc_lo
	s_cbranch_execz .LBB51_49
; %bb.8:
	s_load_dwordx16 s[8:23], s[4:5], 0x8
	v_lshlrev_b32_e32 v5, 2, v5
	v_and_b32_e32 v0, 63, v0
	s_mov_b32 s7, exec_lo
	s_waitcnt lgkmcnt(0)
	global_load_dword v17, v5, s[18:19]
	s_waitcnt vmcnt(0)
	v_ashrrev_i32_e32 v18, 31, v17
	v_lshlrev_b64 v[13:14], 2, v[17:18]
	v_add_co_u32 v5, vcc_lo, s8, v13
	v_add_co_ci_u32_e64 v6, null, s9, v14, vcc_lo
	v_add_co_u32 v7, vcc_lo, s14, v13
	v_add_co_ci_u32_e64 v8, null, s15, v14, vcc_lo
	global_load_dword v9, v[5:6], off
	global_load_dword v18, v[7:8], off
	s_waitcnt vmcnt(1)
	v_subrev_nc_u32_e32 v19, s34, v9
	s_waitcnt vmcnt(0)
	v_cmpx_lt_i32_e64 v19, v18
	s_cbranch_execz .LBB51_25
; %bb.9:
	global_load_dword v5, v[5:6], off offset:4
	v_add_nc_u32_e32 v26, 1, v0
	s_mov_b32 s18, 0
	s_waitcnt vmcnt(0)
	v_xad_u32 v27, s34, -1, v5
	s_branch .LBB51_12
.LBB51_10:                              ;   in Loop: Header=BB51_12 Depth=1
	s_or_b32 exec_lo, exec_lo, s19
	v_cmp_ge_i32_e32 vcc_lo, v19, v18
	s_orn2_b32 s19, vcc_lo, exec_lo
.LBB51_11:                              ;   in Loop: Header=BB51_12 Depth=1
	s_or_b32 exec_lo, exec_lo, s6
	s_and_b32 s6, exec_lo, s19
	s_or_b32 s18, s6, s18
	s_andn2_b32 exec_lo, exec_lo, s18
	s_cbranch_execz .LBB51_25
.LBB51_12:                              ; =>This Loop Header: Depth=1
                                        ;     Child Loop BB51_14 Depth 2
                                        ;     Child Loop BB51_19 Depth 2
                                        ;       Child Loop BB51_21 Depth 3
	v_ashrrev_i32_e32 v20, 31, v19
	s_mov_b32 s6, exec_lo
	v_lshlrev_b64 v[5:6], 2, v[19:20]
	v_lshlrev_b64 v[7:8], 4, v[19:20]
	v_add_co_u32 v5, vcc_lo, s10, v5
	v_add_co_ci_u32_e64 v6, null, s11, v6, vcc_lo
	v_add_co_u32 v20, vcc_lo, s12, v7
	v_add_co_ci_u32_e64 v21, null, s13, v8, vcc_lo
	global_load_dword v5, v[5:6], off
	s_waitcnt vmcnt(0)
	v_subrev_nc_u32_e32 v5, s34, v5
	v_ashrrev_i32_e32 v6, 31, v5
	v_lshlrev_b64 v[5:6], 2, v[5:6]
	v_add_co_u32 v11, vcc_lo, s8, v5
	v_add_co_ci_u32_e64 v12, null, s9, v6, vcc_lo
	v_add_co_u32 v22, vcc_lo, s14, v5
	v_add_co_ci_u32_e64 v23, null, s15, v6, vcc_lo
	v_add_co_u32 v9, vcc_lo, s16, v5
	v_add_co_ci_u32_e64 v10, null, s17, v6, vcc_lo
	global_load_dwordx4 v[5:8], v[20:21], off
	global_load_dword v12, v[11:12], off offset:4
	global_load_dword v11, v[22:23], off
	global_load_dword v22, v[9:10], off glc dlc
	s_waitcnt vmcnt(0)
	v_cmpx_eq_u32_e32 0, v22
	s_cbranch_execz .LBB51_15
; %bb.13:                               ;   in Loop: Header=BB51_12 Depth=1
	s_mov_b32 s19, 0
.LBB51_14:                              ;   Parent Loop BB51_12 Depth=1
                                        ; =>  This Inner Loop Header: Depth=2
	global_load_dword v22, v[9:10], off glc dlc
	s_waitcnt vmcnt(0)
	v_cmp_ne_u32_e32 vcc_lo, 0, v22
	s_or_b32 s19, vcc_lo, s19
	s_andn2_b32 exec_lo, exec_lo, s19
	s_cbranch_execnz .LBB51_14
.LBB51_15:                              ;   in Loop: Header=BB51_12 Depth=1
	s_or_b32 exec_lo, exec_lo, s6
	v_subrev_nc_u32_e32 v28, s34, v12
	v_cmp_eq_u32_e32 vcc_lo, -1, v11
	s_waitcnt_vscnt null, 0x0
	buffer_gl1_inv
	buffer_gl0_inv
	s_mov_b32 s19, -1
	v_add_nc_u32_e32 v9, -1, v28
	v_cndmask_b32_e32 v22, v11, v9, vcc_lo
	v_ashrrev_i32_e32 v23, 31, v22
	v_lshlrev_b64 v[9:10], 4, v[22:23]
	v_add_co_u32 v9, vcc_lo, s12, v9
	v_add_co_ci_u32_e64 v10, null, s13, v10, vcc_lo
	global_load_dwordx4 v[9:12], v[9:10], off
	s_waitcnt vmcnt(0)
	v_cmp_neq_f64_e32 vcc_lo, 0, v[9:10]
	v_cmp_neq_f64_e64 s6, 0, v[11:12]
	s_or_b32 s6, vcc_lo, s6
	s_and_saveexec_b32 s26, s6
	s_xor_b32 s6, exec_lo, s26
	s_cbranch_execz .LBB51_11
; %bb.16:                               ;   in Loop: Header=BB51_12 Depth=1
	v_mul_f64 v[29:30], v[11:12], v[11:12]
	v_add_nc_u32_e32 v19, 1, v19
	s_mov_b32 s19, exec_lo
	v_fma_f64 v[29:30], v[9:10], v[9:10], v[29:30]
	v_div_scale_f64 v[31:32], null, v[29:30], v[29:30], 1.0
	v_div_scale_f64 v[37:38], vcc_lo, 1.0, v[29:30], 1.0
	v_rcp_f64_e32 v[33:34], v[31:32]
	v_fma_f64 v[35:36], -v[31:32], v[33:34], 1.0
	v_fma_f64 v[33:34], v[33:34], v[35:36], v[33:34]
	v_fma_f64 v[35:36], -v[31:32], v[33:34], 1.0
	v_fma_f64 v[33:34], v[33:34], v[35:36], v[33:34]
	v_mul_f64 v[35:36], v[37:38], v[33:34]
	v_fma_f64 v[31:32], -v[31:32], v[35:36], v[37:38]
	v_mul_f64 v[37:38], v[7:8], v[11:12]
	v_mul_f64 v[11:12], v[11:12], -v[5:6]
	v_div_fmas_f64 v[31:32], v[31:32], v[33:34], v[35:36]
	v_fma_f64 v[5:6], v[5:6], v[9:10], v[37:38]
	v_fma_f64 v[7:8], v[7:8], v[9:10], v[11:12]
	v_add_nc_u32_e32 v9, v26, v22
	v_div_fixup_f64 v[29:30], v[31:32], v[29:30], 1.0
	v_mul_f64 v[5:6], v[5:6], v[29:30]
	v_mul_f64 v[7:8], v[7:8], v[29:30]
	global_store_dwordx4 v[20:21], v[5:8], off
	v_cmpx_lt_i32_e64 v9, v28
	s_cbranch_execz .LBB51_10
; %bb.17:                               ;   in Loop: Header=BB51_12 Depth=1
	v_mov_b32_e32 v11, v19
	s_mov_b32 s26, 0
	s_branch .LBB51_19
.LBB51_18:                              ;   in Loop: Header=BB51_19 Depth=2
	s_or_b32 exec_lo, exec_lo, s27
	v_add_nc_u32_e32 v9, 64, v9
	v_cmp_ge_i32_e32 vcc_lo, v9, v28
	s_or_b32 s26, vcc_lo, s26
	s_andn2_b32 exec_lo, exec_lo, s26
	s_cbranch_execz .LBB51_10
.LBB51_19:                              ;   Parent Loop BB51_12 Depth=1
                                        ; =>  This Loop Header: Depth=2
                                        ;       Child Loop BB51_21 Depth 3
	v_add_nc_u32_e32 v10, v11, v27
	s_mov_b32 s27, exec_lo
	v_ashrrev_i32_e32 v20, 1, v10
	v_ashrrev_i32_e32 v10, 31, v9
	;; [unrolled: 1-line block ×3, first 2 shown]
	v_lshlrev_b64 v[22:23], 2, v[9:10]
	v_lshlrev_b64 v[29:30], 2, v[20:21]
	v_add_co_u32 v21, vcc_lo, s10, v22
	v_add_co_ci_u32_e64 v22, null, s11, v23, vcc_lo
	v_add_co_u32 v29, vcc_lo, s10, v29
	v_add_co_ci_u32_e64 v30, null, s11, v30, vcc_lo
	s_clause 0x1
	global_load_dword v12, v[21:22], off
	global_load_dword v21, v[29:30], off
	v_cmpx_lt_i32_e64 v11, v27
	s_cbranch_execz .LBB51_23
; %bb.20:                               ;   in Loop: Header=BB51_19 Depth=2
	v_mov_b32_e32 v22, v27
	s_mov_b32 s28, 0
	.p2align	6
.LBB51_21:                              ;   Parent Loop BB51_12 Depth=1
                                        ;     Parent Loop BB51_19 Depth=2
                                        ; =>    This Inner Loop Header: Depth=3
	v_add_nc_u32_e32 v23, 1, v20
	s_waitcnt vmcnt(0)
	v_cmp_lt_i32_e32 vcc_lo, v21, v12
	v_cndmask_b32_e32 v22, v20, v22, vcc_lo
	v_cndmask_b32_e32 v11, v11, v23, vcc_lo
	v_add_nc_u32_e32 v20, v22, v11
	v_ashrrev_i32_e32 v20, 1, v20
	v_ashrrev_i32_e32 v21, 31, v20
	v_lshlrev_b64 v[29:30], 2, v[20:21]
	v_add_co_u32 v29, vcc_lo, s10, v29
	v_add_co_ci_u32_e64 v30, null, s11, v30, vcc_lo
	v_cmp_ge_i32_e32 vcc_lo, v11, v22
	global_load_dword v21, v[29:30], off
	s_or_b32 s28, vcc_lo, s28
	s_andn2_b32 exec_lo, exec_lo, s28
	s_cbranch_execnz .LBB51_21
; %bb.22:                               ;   in Loop: Header=BB51_19 Depth=2
	s_or_b32 exec_lo, exec_lo, s28
.LBB51_23:                              ;   in Loop: Header=BB51_19 Depth=2
	s_or_b32 exec_lo, exec_lo, s27
	s_mov_b32 s27, exec_lo
	s_waitcnt vmcnt(0)
	v_cmpx_eq_u32_e64 v21, v12
	s_cbranch_execz .LBB51_18
; %bb.24:                               ;   in Loop: Header=BB51_19 Depth=2
	v_ashrrev_i32_e32 v12, 31, v11
	v_lshlrev_b64 v[20:21], 4, v[9:10]
	v_lshlrev_b64 v[22:23], 4, v[11:12]
	v_add_co_u32 v20, vcc_lo, s12, v20
	v_add_co_ci_u32_e64 v21, null, s13, v21, vcc_lo
	v_add_co_u32 v33, vcc_lo, s12, v22
	v_add_co_ci_u32_e64 v34, null, s13, v23, vcc_lo
	s_clause 0x1
	global_load_dwordx4 v[20:23], v[20:21], off
	global_load_dwordx4 v[29:32], v[33:34], off
	s_waitcnt vmcnt(0)
	v_fma_f64 v[29:30], -v[5:6], v[20:21], v[29:30]
	v_fma_f64 v[31:32], -v[7:8], v[20:21], v[31:32]
	v_fma_f64 v[20:21], v[7:8], v[22:23], v[29:30]
	v_fma_f64 v[22:23], -v[5:6], v[22:23], v[31:32]
	global_store_dwordx4 v[33:34], v[20:23], off
	s_branch .LBB51_18
.LBB51_25:
	s_or_b32 exec_lo, exec_lo, s7
	s_mov_b32 s7, exec_lo
	s_waitcnt_vscnt null, 0x0
	buffer_gl0_inv
	v_cmpx_lt_i32_e32 -1, v18
	s_cbranch_execz .LBB51_47
; %bb.26:
	v_mov_b32_e32 v19, 0
	s_mov_b32 s6, exec_lo
	v_lshlrev_b64 v[5:6], 4, v[18:19]
	v_add_co_u32 v9, vcc_lo, s12, v5
	v_add_co_ci_u32_e64 v10, null, s13, v6, vcc_lo
	global_load_dwordx4 v[5:8], v[9:10], off
	s_waitcnt vmcnt(0)
	v_cmp_gt_f64_e32 vcc_lo, 0, v[5:6]
	v_xor_b32_e32 v12, 0x80000000, v6
	v_xor_b32_e32 v18, 0x80000000, v8
	v_mov_b32_e32 v11, v5
	v_mov_b32_e32 v20, v7
	v_cndmask_b32_e32 v12, v6, v12, vcc_lo
	v_cmp_gt_f64_e32 vcc_lo, 0, v[7:8]
	v_cndmask_b32_e32 v21, v8, v18, vcc_lo
                                        ; implicit-def: $vgpr18_vgpr19
	v_cmpx_ngt_f64_e32 v[11:12], v[20:21]
	s_xor_b32 s6, exec_lo, s6
	s_cbranch_execz .LBB51_30
; %bb.27:
	v_mov_b32_e32 v18, 0
	v_mov_b32_e32 v19, 0
	s_mov_b32 s8, exec_lo
	v_cmpx_neq_f64_e32 0, v[7:8]
	s_cbranch_execz .LBB51_29
; %bb.28:
	v_div_scale_f64 v[18:19], null, v[20:21], v[20:21], v[11:12]
	v_div_scale_f64 v[28:29], vcc_lo, v[11:12], v[20:21], v[11:12]
	v_rcp_f64_e32 v[22:23], v[18:19]
	v_fma_f64 v[26:27], -v[18:19], v[22:23], 1.0
	v_fma_f64 v[22:23], v[22:23], v[26:27], v[22:23]
	v_fma_f64 v[26:27], -v[18:19], v[22:23], 1.0
	v_fma_f64 v[22:23], v[22:23], v[26:27], v[22:23]
	v_mul_f64 v[26:27], v[28:29], v[22:23]
	v_fma_f64 v[18:19], -v[18:19], v[26:27], v[28:29]
	v_div_fmas_f64 v[18:19], v[18:19], v[22:23], v[26:27]
	v_div_fixup_f64 v[11:12], v[18:19], v[20:21], v[11:12]
	v_fma_f64 v[11:12], v[11:12], v[11:12], 1.0
	v_cmp_gt_f64_e32 vcc_lo, 0x10000000, v[11:12]
	v_cndmask_b32_e64 v18, 0, 0x100, vcc_lo
	v_ldexp_f64 v[11:12], v[11:12], v18
	v_rsq_f64_e32 v[18:19], v[11:12]
	v_mul_f64 v[22:23], v[11:12], v[18:19]
	v_mul_f64 v[18:19], v[18:19], 0.5
	v_fma_f64 v[26:27], -v[18:19], v[22:23], 0.5
	v_fma_f64 v[22:23], v[22:23], v[26:27], v[22:23]
	v_fma_f64 v[18:19], v[18:19], v[26:27], v[18:19]
	v_fma_f64 v[26:27], -v[22:23], v[22:23], v[11:12]
	v_fma_f64 v[22:23], v[26:27], v[18:19], v[22:23]
	v_fma_f64 v[26:27], -v[22:23], v[22:23], v[11:12]
	v_fma_f64 v[18:19], v[26:27], v[18:19], v[22:23]
	v_cndmask_b32_e64 v22, 0, 0xffffff80, vcc_lo
	v_cmp_class_f64_e64 vcc_lo, v[11:12], 0x260
	v_ldexp_f64 v[18:19], v[18:19], v22
	v_cndmask_b32_e32 v12, v19, v12, vcc_lo
	v_cndmask_b32_e32 v11, v18, v11, vcc_lo
	v_mul_f64 v[18:19], v[20:21], v[11:12]
.LBB51_29:
	s_or_b32 exec_lo, exec_lo, s8
                                        ; implicit-def: $vgpr11_vgpr12
                                        ; implicit-def: $vgpr20_vgpr21
.LBB51_30:
	s_andn2_saveexec_b32 s6, s6
	s_cbranch_execz .LBB51_32
; %bb.31:
	v_div_scale_f64 v[18:19], null, v[11:12], v[11:12], v[20:21]
	v_div_scale_f64 v[28:29], vcc_lo, v[20:21], v[11:12], v[20:21]
	v_rcp_f64_e32 v[22:23], v[18:19]
	v_fma_f64 v[26:27], -v[18:19], v[22:23], 1.0
	v_fma_f64 v[22:23], v[22:23], v[26:27], v[22:23]
	v_fma_f64 v[26:27], -v[18:19], v[22:23], 1.0
	v_fma_f64 v[22:23], v[22:23], v[26:27], v[22:23]
	v_mul_f64 v[26:27], v[28:29], v[22:23]
	v_fma_f64 v[18:19], -v[18:19], v[26:27], v[28:29]
	v_div_fmas_f64 v[18:19], v[18:19], v[22:23], v[26:27]
	v_div_fixup_f64 v[18:19], v[18:19], v[11:12], v[20:21]
	v_fma_f64 v[18:19], v[18:19], v[18:19], 1.0
	v_cmp_gt_f64_e32 vcc_lo, 0x10000000, v[18:19]
	v_cndmask_b32_e64 v20, 0, 0x100, vcc_lo
	v_ldexp_f64 v[18:19], v[18:19], v20
	v_rsq_f64_e32 v[20:21], v[18:19]
	v_mul_f64 v[22:23], v[18:19], v[20:21]
	v_mul_f64 v[20:21], v[20:21], 0.5
	v_fma_f64 v[26:27], -v[20:21], v[22:23], 0.5
	v_fma_f64 v[22:23], v[22:23], v[26:27], v[22:23]
	v_fma_f64 v[20:21], v[20:21], v[26:27], v[20:21]
	v_fma_f64 v[26:27], -v[22:23], v[22:23], v[18:19]
	v_fma_f64 v[22:23], v[26:27], v[20:21], v[22:23]
	v_fma_f64 v[26:27], -v[22:23], v[22:23], v[18:19]
	v_fma_f64 v[20:21], v[26:27], v[20:21], v[22:23]
	v_cndmask_b32_e64 v22, 0, 0xffffff80, vcc_lo
	v_cmp_class_f64_e64 vcc_lo, v[18:19], 0x260
	v_ldexp_f64 v[20:21], v[20:21], v22
	v_cndmask_b32_e32 v19, v21, v19, vcc_lo
	v_cndmask_b32_e32 v18, v20, v18, vcc_lo
	v_mul_f64 v[18:19], v[11:12], v[18:19]
.LBB51_32:
	s_or_b32 exec_lo, exec_lo, s6
	v_cmp_ne_u32_e32 vcc_lo, 1, v25
	v_cmp_eq_u32_e64 s6, 0, v0
	s_mov_b32 s8, -1
	s_cbranch_vccnz .LBB51_36
; %bb.33:
	v_cvt_f64_f32_e32 v[11:12], v24
	s_cmp_eq_u64 s[24:25], 8
	s_cselect_b32 vcc_lo, -1, 0
	v_cndmask_b32_e32 v12, v12, v16, vcc_lo
	v_cndmask_b32_e32 v11, v11, v15, vcc_lo
	v_cmp_le_f64_e32 vcc_lo, v[18:19], v[11:12]
	s_and_b32 s9, s6, vcc_lo
	s_and_saveexec_b32 s8, s9
	s_cbranch_execz .LBB51_35
; %bb.34:
	global_store_dwordx4 v[9:10], v[1:4], off
.LBB51_35:
	s_or_b32 exec_lo, exec_lo, s8
	s_mov_b32 s8, 0
.LBB51_36:
	s_andn2_b32 vcc_lo, exec_lo, s8
	s_cbranch_vccnz .LBB51_47
; %bb.37:
	s_load_dwordx2 s[4:5], s[4:5], 0x48
	v_add_nc_u32_e32 v1, s34, v17
	s_waitcnt lgkmcnt(0)
	v_cmp_ge_f64_e32 vcc_lo, s[4:5], v[18:19]
	s_and_b32 s5, s6, vcc_lo
	s_and_saveexec_b32 s4, s5
	s_cbranch_execz .LBB51_42
; %bb.38:
	s_mov_b32 s8, exec_lo
	s_brev_b32 s5, -2
.LBB51_39:                              ; =>This Inner Loop Header: Depth=1
	s_ff1_i32_b32 s9, s8
	v_readlane_b32 s10, v1, s9
	s_lshl_b32 s9, 1, s9
	s_andn2_b32 s8, s8, s9
	s_min_i32 s5, s5, s10
	s_cmp_lg_u32 s8, 0
	s_cbranch_scc1 .LBB51_39
; %bb.40:
	v_mbcnt_lo_u32_b32 v2, exec_lo, 0
	s_mov_b32 s8, exec_lo
	v_cmpx_eq_u32_e32 0, v2
	s_xor_b32 s8, exec_lo, s8
	s_cbranch_execz .LBB51_42
; %bb.41:
	v_mov_b32_e32 v2, 0
	v_mov_b32_e32 v3, s5
	global_atomic_smin v2, v3, s[22:23]
.LBB51_42:
	s_or_b32 exec_lo, exec_lo, s4
	v_cmp_eq_f64_e32 vcc_lo, 0, v[5:6]
	v_cmp_eq_f64_e64 s4, 0, v[7:8]
	s_and_b32 s4, vcc_lo, s4
	s_and_b32 s4, s6, s4
	s_and_b32 exec_lo, exec_lo, s4
	s_cbranch_execz .LBB51_47
; %bb.43:
	s_mov_b32 s5, exec_lo
	s_brev_b32 s4, -2
.LBB51_44:                              ; =>This Inner Loop Header: Depth=1
	s_ff1_i32_b32 s6, s5
	v_readlane_b32 s8, v1, s6
	s_lshl_b32 s6, 1, s6
	s_andn2_b32 s5, s5, s6
	s_min_i32 s4, s4, s8
	s_cmp_lg_u32 s5, 0
	s_cbranch_scc1 .LBB51_44
; %bb.45:
	v_mbcnt_lo_u32_b32 v1, exec_lo, 0
	s_mov_b32 s5, exec_lo
	v_cmpx_eq_u32_e32 0, v1
	s_xor_b32 s5, exec_lo, s5
	s_cbranch_execz .LBB51_47
; %bb.46:
	v_mov_b32_e32 v1, 0
	v_mov_b32_e32 v2, s4
	global_atomic_smin v1, v2, s[20:21]
.LBB51_47:
	s_or_b32 exec_lo, exec_lo, s7
	v_cmp_eq_u32_e32 vcc_lo, 0, v0
	s_waitcnt_vscnt null, 0x0
	buffer_gl1_inv
	buffer_gl0_inv
	s_and_b32 exec_lo, exec_lo, vcc_lo
	s_cbranch_execz .LBB51_49
; %bb.48:
	v_add_co_u32 v0, vcc_lo, s16, v13
	v_add_co_ci_u32_e64 v1, null, s17, v14, vcc_lo
	v_mov_b32_e32 v2, 1
	global_store_dword v[0:1], v2, off
.LBB51_49:
	s_endpgm
	.section	.rodata,"a",@progbits
	.p2align	6, 0x0
	.amdhsa_kernel _ZN9rocsparseL17csrilu0_binsearchILj256ELj64ELb0E21rocsparse_complex_numIdEEEviPKiS4_PT2_S4_PiS4_S7_S7_d21rocsparse_index_base_imNS_24const_host_device_scalarIfEENS9_IdEENS9_IS5_EEb
		.amdhsa_group_segment_fixed_size 0
		.amdhsa_private_segment_fixed_size 16
		.amdhsa_kernarg_size 132
		.amdhsa_user_sgpr_count 8
		.amdhsa_user_sgpr_private_segment_buffer 1
		.amdhsa_user_sgpr_dispatch_ptr 0
		.amdhsa_user_sgpr_queue_ptr 0
		.amdhsa_user_sgpr_kernarg_segment_ptr 1
		.amdhsa_user_sgpr_dispatch_id 0
		.amdhsa_user_sgpr_flat_scratch_init 1
		.amdhsa_user_sgpr_private_segment_size 0
		.amdhsa_wavefront_size32 1
		.amdhsa_uses_dynamic_stack 0
		.amdhsa_system_sgpr_private_segment_wavefront_offset 1
		.amdhsa_system_sgpr_workgroup_id_x 1
		.amdhsa_system_sgpr_workgroup_id_y 0
		.amdhsa_system_sgpr_workgroup_id_z 0
		.amdhsa_system_sgpr_workgroup_info 0
		.amdhsa_system_vgpr_workitem_id 0
		.amdhsa_next_free_vgpr 39
		.amdhsa_next_free_sgpr 36
		.amdhsa_reserve_vcc 1
		.amdhsa_reserve_flat_scratch 1
		.amdhsa_float_round_mode_32 0
		.amdhsa_float_round_mode_16_64 0
		.amdhsa_float_denorm_mode_32 3
		.amdhsa_float_denorm_mode_16_64 3
		.amdhsa_dx10_clamp 1
		.amdhsa_ieee_mode 1
		.amdhsa_fp16_overflow 0
		.amdhsa_workgroup_processor_mode 1
		.amdhsa_memory_ordered 1
		.amdhsa_forward_progress 1
		.amdhsa_shared_vgpr_count 0
		.amdhsa_exception_fp_ieee_invalid_op 0
		.amdhsa_exception_fp_denorm_src 0
		.amdhsa_exception_fp_ieee_div_zero 0
		.amdhsa_exception_fp_ieee_overflow 0
		.amdhsa_exception_fp_ieee_underflow 0
		.amdhsa_exception_fp_ieee_inexact 0
		.amdhsa_exception_int_div_zero 0
	.end_amdhsa_kernel
	.section	.text._ZN9rocsparseL17csrilu0_binsearchILj256ELj64ELb0E21rocsparse_complex_numIdEEEviPKiS4_PT2_S4_PiS4_S7_S7_d21rocsparse_index_base_imNS_24const_host_device_scalarIfEENS9_IdEENS9_IS5_EEb,"axG",@progbits,_ZN9rocsparseL17csrilu0_binsearchILj256ELj64ELb0E21rocsparse_complex_numIdEEEviPKiS4_PT2_S4_PiS4_S7_S7_d21rocsparse_index_base_imNS_24const_host_device_scalarIfEENS9_IdEENS9_IS5_EEb,comdat
.Lfunc_end51:
	.size	_ZN9rocsparseL17csrilu0_binsearchILj256ELj64ELb0E21rocsparse_complex_numIdEEEviPKiS4_PT2_S4_PiS4_S7_S7_d21rocsparse_index_base_imNS_24const_host_device_scalarIfEENS9_IdEENS9_IS5_EEb, .Lfunc_end51-_ZN9rocsparseL17csrilu0_binsearchILj256ELj64ELb0E21rocsparse_complex_numIdEEEviPKiS4_PT2_S4_PiS4_S7_S7_d21rocsparse_index_base_imNS_24const_host_device_scalarIfEENS9_IdEENS9_IS5_EEb
                                        ; -- End function
	.set _ZN9rocsparseL17csrilu0_binsearchILj256ELj64ELb0E21rocsparse_complex_numIdEEEviPKiS4_PT2_S4_PiS4_S7_S7_d21rocsparse_index_base_imNS_24const_host_device_scalarIfEENS9_IdEENS9_IS5_EEb.num_vgpr, 39
	.set _ZN9rocsparseL17csrilu0_binsearchILj256ELj64ELb0E21rocsparse_complex_numIdEEEviPKiS4_PT2_S4_PiS4_S7_S7_d21rocsparse_index_base_imNS_24const_host_device_scalarIfEENS9_IdEENS9_IS5_EEb.num_agpr, 0
	.set _ZN9rocsparseL17csrilu0_binsearchILj256ELj64ELb0E21rocsparse_complex_numIdEEEviPKiS4_PT2_S4_PiS4_S7_S7_d21rocsparse_index_base_imNS_24const_host_device_scalarIfEENS9_IdEENS9_IS5_EEb.numbered_sgpr, 36
	.set _ZN9rocsparseL17csrilu0_binsearchILj256ELj64ELb0E21rocsparse_complex_numIdEEEviPKiS4_PT2_S4_PiS4_S7_S7_d21rocsparse_index_base_imNS_24const_host_device_scalarIfEENS9_IdEENS9_IS5_EEb.num_named_barrier, 0
	.set _ZN9rocsparseL17csrilu0_binsearchILj256ELj64ELb0E21rocsparse_complex_numIdEEEviPKiS4_PT2_S4_PiS4_S7_S7_d21rocsparse_index_base_imNS_24const_host_device_scalarIfEENS9_IdEENS9_IS5_EEb.private_seg_size, 16
	.set _ZN9rocsparseL17csrilu0_binsearchILj256ELj64ELb0E21rocsparse_complex_numIdEEEviPKiS4_PT2_S4_PiS4_S7_S7_d21rocsparse_index_base_imNS_24const_host_device_scalarIfEENS9_IdEENS9_IS5_EEb.uses_vcc, 1
	.set _ZN9rocsparseL17csrilu0_binsearchILj256ELj64ELb0E21rocsparse_complex_numIdEEEviPKiS4_PT2_S4_PiS4_S7_S7_d21rocsparse_index_base_imNS_24const_host_device_scalarIfEENS9_IdEENS9_IS5_EEb.uses_flat_scratch, 1
	.set _ZN9rocsparseL17csrilu0_binsearchILj256ELj64ELb0E21rocsparse_complex_numIdEEEviPKiS4_PT2_S4_PiS4_S7_S7_d21rocsparse_index_base_imNS_24const_host_device_scalarIfEENS9_IdEENS9_IS5_EEb.has_dyn_sized_stack, 0
	.set _ZN9rocsparseL17csrilu0_binsearchILj256ELj64ELb0E21rocsparse_complex_numIdEEEviPKiS4_PT2_S4_PiS4_S7_S7_d21rocsparse_index_base_imNS_24const_host_device_scalarIfEENS9_IdEENS9_IS5_EEb.has_recursion, 0
	.set _ZN9rocsparseL17csrilu0_binsearchILj256ELj64ELb0E21rocsparse_complex_numIdEEEviPKiS4_PT2_S4_PiS4_S7_S7_d21rocsparse_index_base_imNS_24const_host_device_scalarIfEENS9_IdEENS9_IS5_EEb.has_indirect_call, 0
	.section	.AMDGPU.csdata,"",@progbits
; Kernel info:
; codeLenInByte = 2464
; TotalNumSgprs: 38
; NumVgprs: 39
; ScratchSize: 16
; MemoryBound: 0
; FloatMode: 240
; IeeeMode: 1
; LDSByteSize: 0 bytes/workgroup (compile time only)
; SGPRBlocks: 0
; VGPRBlocks: 4
; NumSGPRsForWavesPerEU: 38
; NumVGPRsForWavesPerEU: 39
; Occupancy: 16
; WaveLimiterHint : 1
; COMPUTE_PGM_RSRC2:SCRATCH_EN: 1
; COMPUTE_PGM_RSRC2:USER_SGPR: 8
; COMPUTE_PGM_RSRC2:TRAP_HANDLER: 0
; COMPUTE_PGM_RSRC2:TGID_X_EN: 1
; COMPUTE_PGM_RSRC2:TGID_Y_EN: 0
; COMPUTE_PGM_RSRC2:TGID_Z_EN: 0
; COMPUTE_PGM_RSRC2:TIDIG_COMP_CNT: 0
	.section	.AMDGPU.gpr_maximums,"",@progbits
	.set amdgpu.max_num_vgpr, 0
	.set amdgpu.max_num_agpr, 0
	.set amdgpu.max_num_sgpr, 0
	.section	.AMDGPU.csdata,"",@progbits
	.type	__hip_cuid_40c72145da5db0d2,@object ; @__hip_cuid_40c72145da5db0d2
	.section	.bss,"aw",@nobits
	.globl	__hip_cuid_40c72145da5db0d2
__hip_cuid_40c72145da5db0d2:
	.byte	0                               ; 0x0
	.size	__hip_cuid_40c72145da5db0d2, 1

	.ident	"AMD clang version 22.0.0git (https://github.com/RadeonOpenCompute/llvm-project roc-7.2.4 26084 f58b06dce1f9c15707c5f808fd002e18c2accf7e)"
	.section	".note.GNU-stack","",@progbits
	.addrsig
	.addrsig_sym __hip_cuid_40c72145da5db0d2
	.amdgpu_metadata
---
amdhsa.kernels:
  - .args:
      - .offset:         0
        .size:           4
        .value_kind:     by_value
      - .address_space:  global
        .offset:         8
        .size:           8
        .value_kind:     global_buffer
      - .address_space:  global
        .offset:         16
        .size:           8
        .value_kind:     global_buffer
      - .address_space:  global
        .offset:         24
        .size:           8
        .value_kind:     global_buffer
      - .address_space:  global
        .offset:         32
        .size:           8
        .value_kind:     global_buffer
      - .address_space:  global
        .offset:         40
        .size:           8
        .value_kind:     global_buffer
      - .address_space:  global
        .offset:         48
        .size:           8
        .value_kind:     global_buffer
      - .address_space:  global
        .offset:         56
        .size:           8
        .value_kind:     global_buffer
      - .address_space:  global
        .offset:         64
        .size:           8
        .value_kind:     global_buffer
      - .offset:         72
        .size:           8
        .value_kind:     by_value
      - .offset:         80
        .size:           4
        .value_kind:     by_value
      - .offset:         84
        .size:           4
        .value_kind:     by_value
      - .offset:         88
        .size:           8
        .value_kind:     by_value
      - .offset:         96
        .size:           8
        .value_kind:     by_value
      - .offset:         104
        .size:           8
        .value_kind:     by_value
      - .offset:         112
        .size:           8
        .value_kind:     by_value
      - .offset:         120
        .size:           1
        .value_kind:     by_value
    .group_segment_fixed_size: 0
    .kernarg_segment_align: 8
    .kernarg_segment_size: 124
    .language:       OpenCL C
    .language_version:
      - 2
      - 0
    .max_flat_workgroup_size: 256
    .name:           _ZN9rocsparseL17csrilu0_binsearchILj256ELj64ELb1EfEEviPKiS2_PT2_S2_PiS2_S5_S5_d21rocsparse_index_base_imNS_24const_host_device_scalarIfEENS7_IdEENS7_IS3_EEb
    .private_segment_fixed_size: 0
    .sgpr_count:     34
    .sgpr_spill_count: 0
    .symbol:         _ZN9rocsparseL17csrilu0_binsearchILj256ELj64ELb1EfEEviPKiS2_PT2_S2_PiS2_S5_S5_d21rocsparse_index_base_imNS_24const_host_device_scalarIfEENS7_IdEENS7_IS3_EEb.kd
    .uniform_work_group_size: 1
    .uses_dynamic_stack: false
    .vgpr_count:     26
    .vgpr_spill_count: 0
    .wavefront_size: 32
    .workgroup_processor_mode: 1
  - .args:
      - .offset:         0
        .size:           4
        .value_kind:     by_value
      - .address_space:  global
        .offset:         8
        .size:           8
        .value_kind:     global_buffer
      - .address_space:  global
        .offset:         16
        .size:           8
        .value_kind:     global_buffer
      - .address_space:  global
        .offset:         24
        .size:           8
        .value_kind:     global_buffer
      - .address_space:  global
        .offset:         32
        .size:           8
        .value_kind:     global_buffer
      - .address_space:  global
        .offset:         40
        .size:           8
        .value_kind:     global_buffer
      - .address_space:  global
        .offset:         48
        .size:           8
        .value_kind:     global_buffer
      - .address_space:  global
        .offset:         56
        .size:           8
        .value_kind:     global_buffer
      - .address_space:  global
        .offset:         64
        .size:           8
        .value_kind:     global_buffer
      - .offset:         72
        .size:           8
        .value_kind:     by_value
      - .offset:         80
        .size:           4
        .value_kind:     by_value
      - .offset:         84
        .size:           4
        .value_kind:     by_value
      - .offset:         88
        .size:           8
        .value_kind:     by_value
      - .offset:         96
        .size:           8
        .value_kind:     by_value
      - .offset:         104
        .size:           8
        .value_kind:     by_value
      - .offset:         112
        .size:           8
        .value_kind:     by_value
      - .offset:         120
        .size:           1
        .value_kind:     by_value
    .group_segment_fixed_size: 2048
    .kernarg_segment_align: 8
    .kernarg_segment_size: 124
    .language:       OpenCL C
    .language_version:
      - 2
      - 0
    .max_flat_workgroup_size: 256
    .name:           _ZN9rocsparseL12csrilu0_hashILj256ELj32ELj1EfEEviPKiS2_PT2_S2_PiS2_S5_S5_d21rocsparse_index_base_imNS_24const_host_device_scalarIfEENS7_IdEENS7_IS3_EEb
    .private_segment_fixed_size: 0
    .sgpr_count:     42
    .sgpr_spill_count: 0
    .symbol:         _ZN9rocsparseL12csrilu0_hashILj256ELj32ELj1EfEEviPKiS2_PT2_S2_PiS2_S5_S5_d21rocsparse_index_base_imNS_24const_host_device_scalarIfEENS7_IdEENS7_IS3_EEb.kd
    .uniform_work_group_size: 1
    .uses_dynamic_stack: false
    .vgpr_count:     24
    .vgpr_spill_count: 0
    .wavefront_size: 32
    .workgroup_processor_mode: 1
  - .args:
      - .offset:         0
        .size:           4
        .value_kind:     by_value
      - .address_space:  global
        .offset:         8
        .size:           8
        .value_kind:     global_buffer
      - .address_space:  global
        .offset:         16
        .size:           8
        .value_kind:     global_buffer
      - .address_space:  global
        .offset:         24
        .size:           8
        .value_kind:     global_buffer
      - .address_space:  global
        .offset:         32
        .size:           8
        .value_kind:     global_buffer
      - .address_space:  global
        .offset:         40
        .size:           8
        .value_kind:     global_buffer
      - .address_space:  global
        .offset:         48
        .size:           8
        .value_kind:     global_buffer
      - .address_space:  global
        .offset:         56
        .size:           8
        .value_kind:     global_buffer
      - .address_space:  global
        .offset:         64
        .size:           8
        .value_kind:     global_buffer
      - .offset:         72
        .size:           8
        .value_kind:     by_value
      - .offset:         80
        .size:           4
        .value_kind:     by_value
      - .offset:         84
        .size:           4
        .value_kind:     by_value
      - .offset:         88
        .size:           8
        .value_kind:     by_value
      - .offset:         96
        .size:           8
        .value_kind:     by_value
      - .offset:         104
        .size:           8
        .value_kind:     by_value
      - .offset:         112
        .size:           8
        .value_kind:     by_value
      - .offset:         120
        .size:           1
        .value_kind:     by_value
    .group_segment_fixed_size: 4096
    .kernarg_segment_align: 8
    .kernarg_segment_size: 124
    .language:       OpenCL C
    .language_version:
      - 2
      - 0
    .max_flat_workgroup_size: 256
    .name:           _ZN9rocsparseL12csrilu0_hashILj256ELj32ELj2EfEEviPKiS2_PT2_S2_PiS2_S5_S5_d21rocsparse_index_base_imNS_24const_host_device_scalarIfEENS7_IdEENS7_IS3_EEb
    .private_segment_fixed_size: 0
    .sgpr_count:     42
    .sgpr_spill_count: 0
    .symbol:         _ZN9rocsparseL12csrilu0_hashILj256ELj32ELj2EfEEviPKiS2_PT2_S2_PiS2_S5_S5_d21rocsparse_index_base_imNS_24const_host_device_scalarIfEENS7_IdEENS7_IS3_EEb.kd
    .uniform_work_group_size: 1
    .uses_dynamic_stack: false
    .vgpr_count:     24
    .vgpr_spill_count: 0
    .wavefront_size: 32
    .workgroup_processor_mode: 1
  - .args:
      - .offset:         0
        .size:           4
        .value_kind:     by_value
      - .address_space:  global
        .offset:         8
        .size:           8
        .value_kind:     global_buffer
      - .address_space:  global
        .offset:         16
        .size:           8
        .value_kind:     global_buffer
      - .address_space:  global
        .offset:         24
        .size:           8
        .value_kind:     global_buffer
      - .address_space:  global
        .offset:         32
        .size:           8
        .value_kind:     global_buffer
      - .address_space:  global
        .offset:         40
        .size:           8
        .value_kind:     global_buffer
      - .address_space:  global
        .offset:         48
        .size:           8
        .value_kind:     global_buffer
      - .address_space:  global
        .offset:         56
        .size:           8
        .value_kind:     global_buffer
      - .address_space:  global
        .offset:         64
        .size:           8
        .value_kind:     global_buffer
      - .offset:         72
        .size:           8
        .value_kind:     by_value
      - .offset:         80
        .size:           4
        .value_kind:     by_value
      - .offset:         84
        .size:           4
        .value_kind:     by_value
      - .offset:         88
        .size:           8
        .value_kind:     by_value
      - .offset:         96
        .size:           8
        .value_kind:     by_value
      - .offset:         104
        .size:           8
        .value_kind:     by_value
      - .offset:         112
        .size:           8
        .value_kind:     by_value
      - .offset:         120
        .size:           1
        .value_kind:     by_value
    .group_segment_fixed_size: 8192
    .kernarg_segment_align: 8
    .kernarg_segment_size: 124
    .language:       OpenCL C
    .language_version:
      - 2
      - 0
    .max_flat_workgroup_size: 256
    .name:           _ZN9rocsparseL12csrilu0_hashILj256ELj32ELj4EfEEviPKiS2_PT2_S2_PiS2_S5_S5_d21rocsparse_index_base_imNS_24const_host_device_scalarIfEENS7_IdEENS7_IS3_EEb
    .private_segment_fixed_size: 0
    .sgpr_count:     42
    .sgpr_spill_count: 0
    .symbol:         _ZN9rocsparseL12csrilu0_hashILj256ELj32ELj4EfEEviPKiS2_PT2_S2_PiS2_S5_S5_d21rocsparse_index_base_imNS_24const_host_device_scalarIfEENS7_IdEENS7_IS3_EEb.kd
    .uniform_work_group_size: 1
    .uses_dynamic_stack: false
    .vgpr_count:     24
    .vgpr_spill_count: 0
    .wavefront_size: 32
    .workgroup_processor_mode: 1
  - .args:
      - .offset:         0
        .size:           4
        .value_kind:     by_value
      - .address_space:  global
        .offset:         8
        .size:           8
        .value_kind:     global_buffer
      - .address_space:  global
        .offset:         16
        .size:           8
        .value_kind:     global_buffer
      - .address_space:  global
        .offset:         24
        .size:           8
        .value_kind:     global_buffer
      - .address_space:  global
        .offset:         32
        .size:           8
        .value_kind:     global_buffer
      - .address_space:  global
        .offset:         40
        .size:           8
        .value_kind:     global_buffer
      - .address_space:  global
        .offset:         48
        .size:           8
        .value_kind:     global_buffer
      - .address_space:  global
        .offset:         56
        .size:           8
        .value_kind:     global_buffer
      - .address_space:  global
        .offset:         64
        .size:           8
        .value_kind:     global_buffer
      - .offset:         72
        .size:           8
        .value_kind:     by_value
      - .offset:         80
        .size:           4
        .value_kind:     by_value
      - .offset:         84
        .size:           4
        .value_kind:     by_value
      - .offset:         88
        .size:           8
        .value_kind:     by_value
      - .offset:         96
        .size:           8
        .value_kind:     by_value
      - .offset:         104
        .size:           8
        .value_kind:     by_value
      - .offset:         112
        .size:           8
        .value_kind:     by_value
      - .offset:         120
        .size:           1
        .value_kind:     by_value
    .group_segment_fixed_size: 16384
    .kernarg_segment_align: 8
    .kernarg_segment_size: 124
    .language:       OpenCL C
    .language_version:
      - 2
      - 0
    .max_flat_workgroup_size: 256
    .name:           _ZN9rocsparseL12csrilu0_hashILj256ELj32ELj8EfEEviPKiS2_PT2_S2_PiS2_S5_S5_d21rocsparse_index_base_imNS_24const_host_device_scalarIfEENS7_IdEENS7_IS3_EEb
    .private_segment_fixed_size: 0
    .sgpr_count:     42
    .sgpr_spill_count: 0
    .symbol:         _ZN9rocsparseL12csrilu0_hashILj256ELj32ELj8EfEEviPKiS2_PT2_S2_PiS2_S5_S5_d21rocsparse_index_base_imNS_24const_host_device_scalarIfEENS7_IdEENS7_IS3_EEb.kd
    .uniform_work_group_size: 1
    .uses_dynamic_stack: false
    .vgpr_count:     24
    .vgpr_spill_count: 0
    .wavefront_size: 32
    .workgroup_processor_mode: 1
  - .args:
      - .offset:         0
        .size:           4
        .value_kind:     by_value
      - .address_space:  global
        .offset:         8
        .size:           8
        .value_kind:     global_buffer
      - .address_space:  global
        .offset:         16
        .size:           8
        .value_kind:     global_buffer
      - .address_space:  global
        .offset:         24
        .size:           8
        .value_kind:     global_buffer
      - .address_space:  global
        .offset:         32
        .size:           8
        .value_kind:     global_buffer
      - .address_space:  global
        .offset:         40
        .size:           8
        .value_kind:     global_buffer
      - .address_space:  global
        .offset:         48
        .size:           8
        .value_kind:     global_buffer
      - .address_space:  global
        .offset:         56
        .size:           8
        .value_kind:     global_buffer
      - .address_space:  global
        .offset:         64
        .size:           8
        .value_kind:     global_buffer
      - .offset:         72
        .size:           8
        .value_kind:     by_value
      - .offset:         80
        .size:           4
        .value_kind:     by_value
      - .offset:         84
        .size:           4
        .value_kind:     by_value
      - .offset:         88
        .size:           8
        .value_kind:     by_value
      - .offset:         96
        .size:           8
        .value_kind:     by_value
      - .offset:         104
        .size:           8
        .value_kind:     by_value
      - .offset:         112
        .size:           8
        .value_kind:     by_value
      - .offset:         120
        .size:           1
        .value_kind:     by_value
    .group_segment_fixed_size: 32768
    .kernarg_segment_align: 8
    .kernarg_segment_size: 124
    .language:       OpenCL C
    .language_version:
      - 2
      - 0
    .max_flat_workgroup_size: 256
    .name:           _ZN9rocsparseL12csrilu0_hashILj256ELj32ELj16EfEEviPKiS2_PT2_S2_PiS2_S5_S5_d21rocsparse_index_base_imNS_24const_host_device_scalarIfEENS7_IdEENS7_IS3_EEb
    .private_segment_fixed_size: 0
    .sgpr_count:     42
    .sgpr_spill_count: 0
    .symbol:         _ZN9rocsparseL12csrilu0_hashILj256ELj32ELj16EfEEviPKiS2_PT2_S2_PiS2_S5_S5_d21rocsparse_index_base_imNS_24const_host_device_scalarIfEENS7_IdEENS7_IS3_EEb.kd
    .uniform_work_group_size: 1
    .uses_dynamic_stack: false
    .vgpr_count:     24
    .vgpr_spill_count: 0
    .wavefront_size: 32
    .workgroup_processor_mode: 1
  - .args:
      - .offset:         0
        .size:           4
        .value_kind:     by_value
      - .address_space:  global
        .offset:         8
        .size:           8
        .value_kind:     global_buffer
      - .address_space:  global
        .offset:         16
        .size:           8
        .value_kind:     global_buffer
      - .address_space:  global
        .offset:         24
        .size:           8
        .value_kind:     global_buffer
      - .address_space:  global
        .offset:         32
        .size:           8
        .value_kind:     global_buffer
      - .address_space:  global
        .offset:         40
        .size:           8
        .value_kind:     global_buffer
      - .address_space:  global
        .offset:         48
        .size:           8
        .value_kind:     global_buffer
      - .address_space:  global
        .offset:         56
        .size:           8
        .value_kind:     global_buffer
      - .address_space:  global
        .offset:         64
        .size:           8
        .value_kind:     global_buffer
      - .offset:         72
        .size:           8
        .value_kind:     by_value
      - .offset:         80
        .size:           4
        .value_kind:     by_value
      - .offset:         84
        .size:           4
        .value_kind:     by_value
      - .offset:         88
        .size:           8
        .value_kind:     by_value
      - .offset:         96
        .size:           8
        .value_kind:     by_value
      - .offset:         104
        .size:           8
        .value_kind:     by_value
      - .offset:         112
        .size:           8
        .value_kind:     by_value
      - .offset:         120
        .size:           1
        .value_kind:     by_value
    .group_segment_fixed_size: 0
    .kernarg_segment_align: 8
    .kernarg_segment_size: 124
    .language:       OpenCL C
    .language_version:
      - 2
      - 0
    .max_flat_workgroup_size: 256
    .name:           _ZN9rocsparseL17csrilu0_binsearchILj256ELj32ELb0EfEEviPKiS2_PT2_S2_PiS2_S5_S5_d21rocsparse_index_base_imNS_24const_host_device_scalarIfEENS7_IdEENS7_IS3_EEb
    .private_segment_fixed_size: 0
    .sgpr_count:     34
    .sgpr_spill_count: 0
    .symbol:         _ZN9rocsparseL17csrilu0_binsearchILj256ELj32ELb0EfEEviPKiS2_PT2_S2_PiS2_S5_S5_d21rocsparse_index_base_imNS_24const_host_device_scalarIfEENS7_IdEENS7_IS3_EEb.kd
    .uniform_work_group_size: 1
    .uses_dynamic_stack: false
    .vgpr_count:     26
    .vgpr_spill_count: 0
    .wavefront_size: 32
    .workgroup_processor_mode: 1
  - .args:
      - .offset:         0
        .size:           4
        .value_kind:     by_value
      - .address_space:  global
        .offset:         8
        .size:           8
        .value_kind:     global_buffer
      - .address_space:  global
        .offset:         16
        .size:           8
        .value_kind:     global_buffer
      - .address_space:  global
        .offset:         24
        .size:           8
        .value_kind:     global_buffer
      - .address_space:  global
        .offset:         32
        .size:           8
        .value_kind:     global_buffer
      - .address_space:  global
        .offset:         40
        .size:           8
        .value_kind:     global_buffer
      - .address_space:  global
        .offset:         48
        .size:           8
        .value_kind:     global_buffer
      - .address_space:  global
        .offset:         56
        .size:           8
        .value_kind:     global_buffer
      - .address_space:  global
        .offset:         64
        .size:           8
        .value_kind:     global_buffer
      - .offset:         72
        .size:           8
        .value_kind:     by_value
      - .offset:         80
        .size:           4
        .value_kind:     by_value
      - .offset:         84
        .size:           4
        .value_kind:     by_value
      - .offset:         88
        .size:           8
        .value_kind:     by_value
      - .offset:         96
        .size:           8
        .value_kind:     by_value
      - .offset:         104
        .size:           8
        .value_kind:     by_value
      - .offset:         112
        .size:           8
        .value_kind:     by_value
      - .offset:         120
        .size:           1
        .value_kind:     by_value
    .group_segment_fixed_size: 2048
    .kernarg_segment_align: 8
    .kernarg_segment_size: 124
    .language:       OpenCL C
    .language_version:
      - 2
      - 0
    .max_flat_workgroup_size: 256
    .name:           _ZN9rocsparseL12csrilu0_hashILj256ELj64ELj1EfEEviPKiS2_PT2_S2_PiS2_S5_S5_d21rocsparse_index_base_imNS_24const_host_device_scalarIfEENS7_IdEENS7_IS3_EEb
    .private_segment_fixed_size: 0
    .sgpr_count:     42
    .sgpr_spill_count: 0
    .symbol:         _ZN9rocsparseL12csrilu0_hashILj256ELj64ELj1EfEEviPKiS2_PT2_S2_PiS2_S5_S5_d21rocsparse_index_base_imNS_24const_host_device_scalarIfEENS7_IdEENS7_IS3_EEb.kd
    .uniform_work_group_size: 1
    .uses_dynamic_stack: false
    .vgpr_count:     24
    .vgpr_spill_count: 0
    .wavefront_size: 32
    .workgroup_processor_mode: 1
  - .args:
      - .offset:         0
        .size:           4
        .value_kind:     by_value
      - .address_space:  global
        .offset:         8
        .size:           8
        .value_kind:     global_buffer
      - .address_space:  global
        .offset:         16
        .size:           8
        .value_kind:     global_buffer
      - .address_space:  global
        .offset:         24
        .size:           8
        .value_kind:     global_buffer
      - .address_space:  global
        .offset:         32
        .size:           8
        .value_kind:     global_buffer
      - .address_space:  global
        .offset:         40
        .size:           8
        .value_kind:     global_buffer
      - .address_space:  global
        .offset:         48
        .size:           8
        .value_kind:     global_buffer
      - .address_space:  global
        .offset:         56
        .size:           8
        .value_kind:     global_buffer
      - .address_space:  global
        .offset:         64
        .size:           8
        .value_kind:     global_buffer
      - .offset:         72
        .size:           8
        .value_kind:     by_value
      - .offset:         80
        .size:           4
        .value_kind:     by_value
      - .offset:         84
        .size:           4
        .value_kind:     by_value
      - .offset:         88
        .size:           8
        .value_kind:     by_value
      - .offset:         96
        .size:           8
        .value_kind:     by_value
      - .offset:         104
        .size:           8
        .value_kind:     by_value
      - .offset:         112
        .size:           8
        .value_kind:     by_value
      - .offset:         120
        .size:           1
        .value_kind:     by_value
    .group_segment_fixed_size: 4096
    .kernarg_segment_align: 8
    .kernarg_segment_size: 124
    .language:       OpenCL C
    .language_version:
      - 2
      - 0
    .max_flat_workgroup_size: 256
    .name:           _ZN9rocsparseL12csrilu0_hashILj256ELj64ELj2EfEEviPKiS2_PT2_S2_PiS2_S5_S5_d21rocsparse_index_base_imNS_24const_host_device_scalarIfEENS7_IdEENS7_IS3_EEb
    .private_segment_fixed_size: 0
    .sgpr_count:     42
    .sgpr_spill_count: 0
    .symbol:         _ZN9rocsparseL12csrilu0_hashILj256ELj64ELj2EfEEviPKiS2_PT2_S2_PiS2_S5_S5_d21rocsparse_index_base_imNS_24const_host_device_scalarIfEENS7_IdEENS7_IS3_EEb.kd
    .uniform_work_group_size: 1
    .uses_dynamic_stack: false
    .vgpr_count:     24
    .vgpr_spill_count: 0
    .wavefront_size: 32
    .workgroup_processor_mode: 1
  - .args:
      - .offset:         0
        .size:           4
        .value_kind:     by_value
      - .address_space:  global
        .offset:         8
        .size:           8
        .value_kind:     global_buffer
      - .address_space:  global
        .offset:         16
        .size:           8
        .value_kind:     global_buffer
      - .address_space:  global
        .offset:         24
        .size:           8
        .value_kind:     global_buffer
      - .address_space:  global
        .offset:         32
        .size:           8
        .value_kind:     global_buffer
      - .address_space:  global
        .offset:         40
        .size:           8
        .value_kind:     global_buffer
      - .address_space:  global
        .offset:         48
        .size:           8
        .value_kind:     global_buffer
      - .address_space:  global
        .offset:         56
        .size:           8
        .value_kind:     global_buffer
      - .address_space:  global
        .offset:         64
        .size:           8
        .value_kind:     global_buffer
      - .offset:         72
        .size:           8
        .value_kind:     by_value
      - .offset:         80
        .size:           4
        .value_kind:     by_value
      - .offset:         84
        .size:           4
        .value_kind:     by_value
      - .offset:         88
        .size:           8
        .value_kind:     by_value
      - .offset:         96
        .size:           8
        .value_kind:     by_value
      - .offset:         104
        .size:           8
        .value_kind:     by_value
      - .offset:         112
        .size:           8
        .value_kind:     by_value
      - .offset:         120
        .size:           1
        .value_kind:     by_value
    .group_segment_fixed_size: 8192
    .kernarg_segment_align: 8
    .kernarg_segment_size: 124
    .language:       OpenCL C
    .language_version:
      - 2
      - 0
    .max_flat_workgroup_size: 256
    .name:           _ZN9rocsparseL12csrilu0_hashILj256ELj64ELj4EfEEviPKiS2_PT2_S2_PiS2_S5_S5_d21rocsparse_index_base_imNS_24const_host_device_scalarIfEENS7_IdEENS7_IS3_EEb
    .private_segment_fixed_size: 0
    .sgpr_count:     42
    .sgpr_spill_count: 0
    .symbol:         _ZN9rocsparseL12csrilu0_hashILj256ELj64ELj4EfEEviPKiS2_PT2_S2_PiS2_S5_S5_d21rocsparse_index_base_imNS_24const_host_device_scalarIfEENS7_IdEENS7_IS3_EEb.kd
    .uniform_work_group_size: 1
    .uses_dynamic_stack: false
    .vgpr_count:     24
    .vgpr_spill_count: 0
    .wavefront_size: 32
    .workgroup_processor_mode: 1
  - .args:
      - .offset:         0
        .size:           4
        .value_kind:     by_value
      - .address_space:  global
        .offset:         8
        .size:           8
        .value_kind:     global_buffer
      - .address_space:  global
        .offset:         16
        .size:           8
        .value_kind:     global_buffer
      - .address_space:  global
        .offset:         24
        .size:           8
        .value_kind:     global_buffer
      - .address_space:  global
        .offset:         32
        .size:           8
        .value_kind:     global_buffer
      - .address_space:  global
        .offset:         40
        .size:           8
        .value_kind:     global_buffer
      - .address_space:  global
        .offset:         48
        .size:           8
        .value_kind:     global_buffer
      - .address_space:  global
        .offset:         56
        .size:           8
        .value_kind:     global_buffer
      - .address_space:  global
        .offset:         64
        .size:           8
        .value_kind:     global_buffer
      - .offset:         72
        .size:           8
        .value_kind:     by_value
      - .offset:         80
        .size:           4
        .value_kind:     by_value
      - .offset:         84
        .size:           4
        .value_kind:     by_value
      - .offset:         88
        .size:           8
        .value_kind:     by_value
      - .offset:         96
        .size:           8
        .value_kind:     by_value
      - .offset:         104
        .size:           8
        .value_kind:     by_value
      - .offset:         112
        .size:           8
        .value_kind:     by_value
      - .offset:         120
        .size:           1
        .value_kind:     by_value
    .group_segment_fixed_size: 16384
    .kernarg_segment_align: 8
    .kernarg_segment_size: 124
    .language:       OpenCL C
    .language_version:
      - 2
      - 0
    .max_flat_workgroup_size: 256
    .name:           _ZN9rocsparseL12csrilu0_hashILj256ELj64ELj8EfEEviPKiS2_PT2_S2_PiS2_S5_S5_d21rocsparse_index_base_imNS_24const_host_device_scalarIfEENS7_IdEENS7_IS3_EEb
    .private_segment_fixed_size: 0
    .sgpr_count:     42
    .sgpr_spill_count: 0
    .symbol:         _ZN9rocsparseL12csrilu0_hashILj256ELj64ELj8EfEEviPKiS2_PT2_S2_PiS2_S5_S5_d21rocsparse_index_base_imNS_24const_host_device_scalarIfEENS7_IdEENS7_IS3_EEb.kd
    .uniform_work_group_size: 1
    .uses_dynamic_stack: false
    .vgpr_count:     24
    .vgpr_spill_count: 0
    .wavefront_size: 32
    .workgroup_processor_mode: 1
  - .args:
      - .offset:         0
        .size:           4
        .value_kind:     by_value
      - .address_space:  global
        .offset:         8
        .size:           8
        .value_kind:     global_buffer
      - .address_space:  global
        .offset:         16
        .size:           8
        .value_kind:     global_buffer
      - .address_space:  global
        .offset:         24
        .size:           8
        .value_kind:     global_buffer
      - .address_space:  global
        .offset:         32
        .size:           8
        .value_kind:     global_buffer
      - .address_space:  global
        .offset:         40
        .size:           8
        .value_kind:     global_buffer
      - .address_space:  global
        .offset:         48
        .size:           8
        .value_kind:     global_buffer
      - .address_space:  global
        .offset:         56
        .size:           8
        .value_kind:     global_buffer
      - .address_space:  global
        .offset:         64
        .size:           8
        .value_kind:     global_buffer
      - .offset:         72
        .size:           8
        .value_kind:     by_value
      - .offset:         80
        .size:           4
        .value_kind:     by_value
      - .offset:         84
        .size:           4
        .value_kind:     by_value
      - .offset:         88
        .size:           8
        .value_kind:     by_value
      - .offset:         96
        .size:           8
        .value_kind:     by_value
      - .offset:         104
        .size:           8
        .value_kind:     by_value
      - .offset:         112
        .size:           8
        .value_kind:     by_value
      - .offset:         120
        .size:           1
        .value_kind:     by_value
    .group_segment_fixed_size: 32768
    .kernarg_segment_align: 8
    .kernarg_segment_size: 124
    .language:       OpenCL C
    .language_version:
      - 2
      - 0
    .max_flat_workgroup_size: 256
    .name:           _ZN9rocsparseL12csrilu0_hashILj256ELj64ELj16EfEEviPKiS2_PT2_S2_PiS2_S5_S5_d21rocsparse_index_base_imNS_24const_host_device_scalarIfEENS7_IdEENS7_IS3_EEb
    .private_segment_fixed_size: 0
    .sgpr_count:     42
    .sgpr_spill_count: 0
    .symbol:         _ZN9rocsparseL12csrilu0_hashILj256ELj64ELj16EfEEviPKiS2_PT2_S2_PiS2_S5_S5_d21rocsparse_index_base_imNS_24const_host_device_scalarIfEENS7_IdEENS7_IS3_EEb.kd
    .uniform_work_group_size: 1
    .uses_dynamic_stack: false
    .vgpr_count:     24
    .vgpr_spill_count: 0
    .wavefront_size: 32
    .workgroup_processor_mode: 1
  - .args:
      - .offset:         0
        .size:           4
        .value_kind:     by_value
      - .address_space:  global
        .offset:         8
        .size:           8
        .value_kind:     global_buffer
      - .address_space:  global
        .offset:         16
        .size:           8
        .value_kind:     global_buffer
      - .address_space:  global
        .offset:         24
        .size:           8
        .value_kind:     global_buffer
      - .address_space:  global
        .offset:         32
        .size:           8
        .value_kind:     global_buffer
      - .address_space:  global
        .offset:         40
        .size:           8
        .value_kind:     global_buffer
      - .address_space:  global
        .offset:         48
        .size:           8
        .value_kind:     global_buffer
      - .address_space:  global
        .offset:         56
        .size:           8
        .value_kind:     global_buffer
      - .address_space:  global
        .offset:         64
        .size:           8
        .value_kind:     global_buffer
      - .offset:         72
        .size:           8
        .value_kind:     by_value
      - .offset:         80
        .size:           4
        .value_kind:     by_value
      - .offset:         84
        .size:           4
        .value_kind:     by_value
      - .offset:         88
        .size:           8
        .value_kind:     by_value
      - .offset:         96
        .size:           8
        .value_kind:     by_value
      - .offset:         104
        .size:           8
        .value_kind:     by_value
      - .offset:         112
        .size:           8
        .value_kind:     by_value
      - .offset:         120
        .size:           1
        .value_kind:     by_value
    .group_segment_fixed_size: 0
    .kernarg_segment_align: 8
    .kernarg_segment_size: 124
    .language:       OpenCL C
    .language_version:
      - 2
      - 0
    .max_flat_workgroup_size: 256
    .name:           _ZN9rocsparseL17csrilu0_binsearchILj256ELj64ELb0EfEEviPKiS2_PT2_S2_PiS2_S5_S5_d21rocsparse_index_base_imNS_24const_host_device_scalarIfEENS7_IdEENS7_IS3_EEb
    .private_segment_fixed_size: 0
    .sgpr_count:     34
    .sgpr_spill_count: 0
    .symbol:         _ZN9rocsparseL17csrilu0_binsearchILj256ELj64ELb0EfEEviPKiS2_PT2_S2_PiS2_S5_S5_d21rocsparse_index_base_imNS_24const_host_device_scalarIfEENS7_IdEENS7_IS3_EEb.kd
    .uniform_work_group_size: 1
    .uses_dynamic_stack: false
    .vgpr_count:     26
    .vgpr_spill_count: 0
    .wavefront_size: 32
    .workgroup_processor_mode: 1
  - .args:
      - .offset:         0
        .size:           4
        .value_kind:     by_value
      - .address_space:  global
        .offset:         8
        .size:           8
        .value_kind:     global_buffer
      - .address_space:  global
        .offset:         16
        .size:           8
        .value_kind:     global_buffer
      - .address_space:  global
        .offset:         24
        .size:           8
        .value_kind:     global_buffer
      - .address_space:  global
        .offset:         32
        .size:           8
        .value_kind:     global_buffer
      - .address_space:  global
        .offset:         40
        .size:           8
        .value_kind:     global_buffer
      - .address_space:  global
        .offset:         48
        .size:           8
        .value_kind:     global_buffer
      - .address_space:  global
        .offset:         56
        .size:           8
        .value_kind:     global_buffer
      - .address_space:  global
        .offset:         64
        .size:           8
        .value_kind:     global_buffer
      - .offset:         72
        .size:           8
        .value_kind:     by_value
      - .offset:         80
        .size:           4
        .value_kind:     by_value
      - .offset:         84
        .size:           4
        .value_kind:     by_value
      - .offset:         88
        .size:           8
        .value_kind:     by_value
      - .offset:         96
        .size:           8
        .value_kind:     by_value
      - .offset:         104
        .size:           8
        .value_kind:     by_value
      - .offset:         112
        .size:           8
        .value_kind:     by_value
      - .offset:         120
        .size:           1
        .value_kind:     by_value
    .group_segment_fixed_size: 0
    .kernarg_segment_align: 8
    .kernarg_segment_size: 124
    .language:       OpenCL C
    .language_version:
      - 2
      - 0
    .max_flat_workgroup_size: 256
    .name:           _ZN9rocsparseL17csrilu0_binsearchILj256ELj64ELb1EdEEviPKiS2_PT2_S2_PiS2_S5_S5_d21rocsparse_index_base_imNS_24const_host_device_scalarIfEENS7_IdEENS7_IS3_EEb
    .private_segment_fixed_size: 0
    .sgpr_count:     34
    .sgpr_spill_count: 0
    .symbol:         _ZN9rocsparseL17csrilu0_binsearchILj256ELj64ELb1EdEEviPKiS2_PT2_S2_PiS2_S5_S5_d21rocsparse_index_base_imNS_24const_host_device_scalarIfEENS7_IdEENS7_IS3_EEb.kd
    .uniform_work_group_size: 1
    .uses_dynamic_stack: false
    .vgpr_count:     30
    .vgpr_spill_count: 0
    .wavefront_size: 32
    .workgroup_processor_mode: 1
  - .args:
      - .offset:         0
        .size:           4
        .value_kind:     by_value
      - .address_space:  global
        .offset:         8
        .size:           8
        .value_kind:     global_buffer
      - .address_space:  global
        .offset:         16
        .size:           8
        .value_kind:     global_buffer
      - .address_space:  global
        .offset:         24
        .size:           8
        .value_kind:     global_buffer
      - .address_space:  global
        .offset:         32
        .size:           8
        .value_kind:     global_buffer
      - .address_space:  global
        .offset:         40
        .size:           8
        .value_kind:     global_buffer
      - .address_space:  global
        .offset:         48
        .size:           8
        .value_kind:     global_buffer
      - .address_space:  global
        .offset:         56
        .size:           8
        .value_kind:     global_buffer
      - .address_space:  global
        .offset:         64
        .size:           8
        .value_kind:     global_buffer
      - .offset:         72
        .size:           8
        .value_kind:     by_value
      - .offset:         80
        .size:           4
        .value_kind:     by_value
      - .offset:         84
        .size:           4
        .value_kind:     by_value
      - .offset:         88
        .size:           8
        .value_kind:     by_value
      - .offset:         96
        .size:           8
        .value_kind:     by_value
      - .offset:         104
        .size:           8
        .value_kind:     by_value
      - .offset:         112
        .size:           8
        .value_kind:     by_value
      - .offset:         120
        .size:           1
        .value_kind:     by_value
    .group_segment_fixed_size: 2048
    .kernarg_segment_align: 8
    .kernarg_segment_size: 124
    .language:       OpenCL C
    .language_version:
      - 2
      - 0
    .max_flat_workgroup_size: 256
    .name:           _ZN9rocsparseL12csrilu0_hashILj256ELj32ELj1EdEEviPKiS2_PT2_S2_PiS2_S5_S5_d21rocsparse_index_base_imNS_24const_host_device_scalarIfEENS7_IdEENS7_IS3_EEb
    .private_segment_fixed_size: 0
    .sgpr_count:     42
    .sgpr_spill_count: 0
    .symbol:         _ZN9rocsparseL12csrilu0_hashILj256ELj32ELj1EdEEviPKiS2_PT2_S2_PiS2_S5_S5_d21rocsparse_index_base_imNS_24const_host_device_scalarIfEENS7_IdEENS7_IS3_EEb.kd
    .uniform_work_group_size: 1
    .uses_dynamic_stack: false
    .vgpr_count:     31
    .vgpr_spill_count: 0
    .wavefront_size: 32
    .workgroup_processor_mode: 1
  - .args:
      - .offset:         0
        .size:           4
        .value_kind:     by_value
      - .address_space:  global
        .offset:         8
        .size:           8
        .value_kind:     global_buffer
      - .address_space:  global
        .offset:         16
        .size:           8
        .value_kind:     global_buffer
      - .address_space:  global
        .offset:         24
        .size:           8
        .value_kind:     global_buffer
      - .address_space:  global
        .offset:         32
        .size:           8
        .value_kind:     global_buffer
      - .address_space:  global
        .offset:         40
        .size:           8
        .value_kind:     global_buffer
      - .address_space:  global
        .offset:         48
        .size:           8
        .value_kind:     global_buffer
      - .address_space:  global
        .offset:         56
        .size:           8
        .value_kind:     global_buffer
      - .address_space:  global
        .offset:         64
        .size:           8
        .value_kind:     global_buffer
      - .offset:         72
        .size:           8
        .value_kind:     by_value
      - .offset:         80
        .size:           4
        .value_kind:     by_value
      - .offset:         84
        .size:           4
        .value_kind:     by_value
      - .offset:         88
        .size:           8
        .value_kind:     by_value
      - .offset:         96
        .size:           8
        .value_kind:     by_value
      - .offset:         104
        .size:           8
        .value_kind:     by_value
      - .offset:         112
        .size:           8
        .value_kind:     by_value
      - .offset:         120
        .size:           1
        .value_kind:     by_value
    .group_segment_fixed_size: 4096
    .kernarg_segment_align: 8
    .kernarg_segment_size: 124
    .language:       OpenCL C
    .language_version:
      - 2
      - 0
    .max_flat_workgroup_size: 256
    .name:           _ZN9rocsparseL12csrilu0_hashILj256ELj32ELj2EdEEviPKiS2_PT2_S2_PiS2_S5_S5_d21rocsparse_index_base_imNS_24const_host_device_scalarIfEENS7_IdEENS7_IS3_EEb
    .private_segment_fixed_size: 0
    .sgpr_count:     42
    .sgpr_spill_count: 0
    .symbol:         _ZN9rocsparseL12csrilu0_hashILj256ELj32ELj2EdEEviPKiS2_PT2_S2_PiS2_S5_S5_d21rocsparse_index_base_imNS_24const_host_device_scalarIfEENS7_IdEENS7_IS3_EEb.kd
    .uniform_work_group_size: 1
    .uses_dynamic_stack: false
    .vgpr_count:     31
    .vgpr_spill_count: 0
    .wavefront_size: 32
    .workgroup_processor_mode: 1
  - .args:
      - .offset:         0
        .size:           4
        .value_kind:     by_value
      - .address_space:  global
        .offset:         8
        .size:           8
        .value_kind:     global_buffer
      - .address_space:  global
        .offset:         16
        .size:           8
        .value_kind:     global_buffer
      - .address_space:  global
        .offset:         24
        .size:           8
        .value_kind:     global_buffer
      - .address_space:  global
        .offset:         32
        .size:           8
        .value_kind:     global_buffer
      - .address_space:  global
        .offset:         40
        .size:           8
        .value_kind:     global_buffer
      - .address_space:  global
        .offset:         48
        .size:           8
        .value_kind:     global_buffer
      - .address_space:  global
        .offset:         56
        .size:           8
        .value_kind:     global_buffer
      - .address_space:  global
        .offset:         64
        .size:           8
        .value_kind:     global_buffer
      - .offset:         72
        .size:           8
        .value_kind:     by_value
      - .offset:         80
        .size:           4
        .value_kind:     by_value
      - .offset:         84
        .size:           4
        .value_kind:     by_value
      - .offset:         88
        .size:           8
        .value_kind:     by_value
      - .offset:         96
        .size:           8
        .value_kind:     by_value
      - .offset:         104
        .size:           8
        .value_kind:     by_value
      - .offset:         112
        .size:           8
        .value_kind:     by_value
      - .offset:         120
        .size:           1
        .value_kind:     by_value
    .group_segment_fixed_size: 8192
    .kernarg_segment_align: 8
    .kernarg_segment_size: 124
    .language:       OpenCL C
    .language_version:
      - 2
      - 0
    .max_flat_workgroup_size: 256
    .name:           _ZN9rocsparseL12csrilu0_hashILj256ELj32ELj4EdEEviPKiS2_PT2_S2_PiS2_S5_S5_d21rocsparse_index_base_imNS_24const_host_device_scalarIfEENS7_IdEENS7_IS3_EEb
    .private_segment_fixed_size: 0
    .sgpr_count:     42
    .sgpr_spill_count: 0
    .symbol:         _ZN9rocsparseL12csrilu0_hashILj256ELj32ELj4EdEEviPKiS2_PT2_S2_PiS2_S5_S5_d21rocsparse_index_base_imNS_24const_host_device_scalarIfEENS7_IdEENS7_IS3_EEb.kd
    .uniform_work_group_size: 1
    .uses_dynamic_stack: false
    .vgpr_count:     31
    .vgpr_spill_count: 0
    .wavefront_size: 32
    .workgroup_processor_mode: 1
  - .args:
      - .offset:         0
        .size:           4
        .value_kind:     by_value
      - .address_space:  global
        .offset:         8
        .size:           8
        .value_kind:     global_buffer
      - .address_space:  global
        .offset:         16
        .size:           8
        .value_kind:     global_buffer
      - .address_space:  global
        .offset:         24
        .size:           8
        .value_kind:     global_buffer
      - .address_space:  global
        .offset:         32
        .size:           8
        .value_kind:     global_buffer
      - .address_space:  global
        .offset:         40
        .size:           8
        .value_kind:     global_buffer
      - .address_space:  global
        .offset:         48
        .size:           8
        .value_kind:     global_buffer
      - .address_space:  global
        .offset:         56
        .size:           8
        .value_kind:     global_buffer
      - .address_space:  global
        .offset:         64
        .size:           8
        .value_kind:     global_buffer
      - .offset:         72
        .size:           8
        .value_kind:     by_value
      - .offset:         80
        .size:           4
        .value_kind:     by_value
      - .offset:         84
        .size:           4
        .value_kind:     by_value
      - .offset:         88
        .size:           8
        .value_kind:     by_value
      - .offset:         96
        .size:           8
        .value_kind:     by_value
      - .offset:         104
        .size:           8
        .value_kind:     by_value
      - .offset:         112
        .size:           8
        .value_kind:     by_value
      - .offset:         120
        .size:           1
        .value_kind:     by_value
    .group_segment_fixed_size: 16384
    .kernarg_segment_align: 8
    .kernarg_segment_size: 124
    .language:       OpenCL C
    .language_version:
      - 2
      - 0
    .max_flat_workgroup_size: 256
    .name:           _ZN9rocsparseL12csrilu0_hashILj256ELj32ELj8EdEEviPKiS2_PT2_S2_PiS2_S5_S5_d21rocsparse_index_base_imNS_24const_host_device_scalarIfEENS7_IdEENS7_IS3_EEb
    .private_segment_fixed_size: 0
    .sgpr_count:     42
    .sgpr_spill_count: 0
    .symbol:         _ZN9rocsparseL12csrilu0_hashILj256ELj32ELj8EdEEviPKiS2_PT2_S2_PiS2_S5_S5_d21rocsparse_index_base_imNS_24const_host_device_scalarIfEENS7_IdEENS7_IS3_EEb.kd
    .uniform_work_group_size: 1
    .uses_dynamic_stack: false
    .vgpr_count:     31
    .vgpr_spill_count: 0
    .wavefront_size: 32
    .workgroup_processor_mode: 1
  - .args:
      - .offset:         0
        .size:           4
        .value_kind:     by_value
      - .address_space:  global
        .offset:         8
        .size:           8
        .value_kind:     global_buffer
      - .address_space:  global
        .offset:         16
        .size:           8
        .value_kind:     global_buffer
      - .address_space:  global
        .offset:         24
        .size:           8
        .value_kind:     global_buffer
      - .address_space:  global
        .offset:         32
        .size:           8
        .value_kind:     global_buffer
      - .address_space:  global
        .offset:         40
        .size:           8
        .value_kind:     global_buffer
      - .address_space:  global
        .offset:         48
        .size:           8
        .value_kind:     global_buffer
      - .address_space:  global
        .offset:         56
        .size:           8
        .value_kind:     global_buffer
      - .address_space:  global
        .offset:         64
        .size:           8
        .value_kind:     global_buffer
      - .offset:         72
        .size:           8
        .value_kind:     by_value
      - .offset:         80
        .size:           4
        .value_kind:     by_value
      - .offset:         84
        .size:           4
        .value_kind:     by_value
      - .offset:         88
        .size:           8
        .value_kind:     by_value
      - .offset:         96
        .size:           8
        .value_kind:     by_value
      - .offset:         104
        .size:           8
        .value_kind:     by_value
      - .offset:         112
        .size:           8
        .value_kind:     by_value
      - .offset:         120
        .size:           1
        .value_kind:     by_value
    .group_segment_fixed_size: 32768
    .kernarg_segment_align: 8
    .kernarg_segment_size: 124
    .language:       OpenCL C
    .language_version:
      - 2
      - 0
    .max_flat_workgroup_size: 256
    .name:           _ZN9rocsparseL12csrilu0_hashILj256ELj32ELj16EdEEviPKiS2_PT2_S2_PiS2_S5_S5_d21rocsparse_index_base_imNS_24const_host_device_scalarIfEENS7_IdEENS7_IS3_EEb
    .private_segment_fixed_size: 0
    .sgpr_count:     42
    .sgpr_spill_count: 0
    .symbol:         _ZN9rocsparseL12csrilu0_hashILj256ELj32ELj16EdEEviPKiS2_PT2_S2_PiS2_S5_S5_d21rocsparse_index_base_imNS_24const_host_device_scalarIfEENS7_IdEENS7_IS3_EEb.kd
    .uniform_work_group_size: 1
    .uses_dynamic_stack: false
    .vgpr_count:     31
    .vgpr_spill_count: 0
    .wavefront_size: 32
    .workgroup_processor_mode: 1
  - .args:
      - .offset:         0
        .size:           4
        .value_kind:     by_value
      - .address_space:  global
        .offset:         8
        .size:           8
        .value_kind:     global_buffer
      - .address_space:  global
        .offset:         16
        .size:           8
        .value_kind:     global_buffer
      - .address_space:  global
        .offset:         24
        .size:           8
        .value_kind:     global_buffer
      - .address_space:  global
        .offset:         32
        .size:           8
        .value_kind:     global_buffer
      - .address_space:  global
        .offset:         40
        .size:           8
        .value_kind:     global_buffer
      - .address_space:  global
        .offset:         48
        .size:           8
        .value_kind:     global_buffer
      - .address_space:  global
        .offset:         56
        .size:           8
        .value_kind:     global_buffer
      - .address_space:  global
        .offset:         64
        .size:           8
        .value_kind:     global_buffer
      - .offset:         72
        .size:           8
        .value_kind:     by_value
      - .offset:         80
        .size:           4
        .value_kind:     by_value
      - .offset:         84
        .size:           4
        .value_kind:     by_value
      - .offset:         88
        .size:           8
        .value_kind:     by_value
      - .offset:         96
        .size:           8
        .value_kind:     by_value
      - .offset:         104
        .size:           8
        .value_kind:     by_value
      - .offset:         112
        .size:           8
        .value_kind:     by_value
      - .offset:         120
        .size:           1
        .value_kind:     by_value
    .group_segment_fixed_size: 0
    .kernarg_segment_align: 8
    .kernarg_segment_size: 124
    .language:       OpenCL C
    .language_version:
      - 2
      - 0
    .max_flat_workgroup_size: 256
    .name:           _ZN9rocsparseL17csrilu0_binsearchILj256ELj32ELb0EdEEviPKiS2_PT2_S2_PiS2_S5_S5_d21rocsparse_index_base_imNS_24const_host_device_scalarIfEENS7_IdEENS7_IS3_EEb
    .private_segment_fixed_size: 0
    .sgpr_count:     34
    .sgpr_spill_count: 0
    .symbol:         _ZN9rocsparseL17csrilu0_binsearchILj256ELj32ELb0EdEEviPKiS2_PT2_S2_PiS2_S5_S5_d21rocsparse_index_base_imNS_24const_host_device_scalarIfEENS7_IdEENS7_IS3_EEb.kd
    .uniform_work_group_size: 1
    .uses_dynamic_stack: false
    .vgpr_count:     30
    .vgpr_spill_count: 0
    .wavefront_size: 32
    .workgroup_processor_mode: 1
  - .args:
      - .offset:         0
        .size:           4
        .value_kind:     by_value
      - .address_space:  global
        .offset:         8
        .size:           8
        .value_kind:     global_buffer
      - .address_space:  global
        .offset:         16
        .size:           8
        .value_kind:     global_buffer
      - .address_space:  global
        .offset:         24
        .size:           8
        .value_kind:     global_buffer
      - .address_space:  global
        .offset:         32
        .size:           8
        .value_kind:     global_buffer
      - .address_space:  global
        .offset:         40
        .size:           8
        .value_kind:     global_buffer
      - .address_space:  global
        .offset:         48
        .size:           8
        .value_kind:     global_buffer
      - .address_space:  global
        .offset:         56
        .size:           8
        .value_kind:     global_buffer
      - .address_space:  global
        .offset:         64
        .size:           8
        .value_kind:     global_buffer
      - .offset:         72
        .size:           8
        .value_kind:     by_value
      - .offset:         80
        .size:           4
        .value_kind:     by_value
      - .offset:         84
        .size:           4
        .value_kind:     by_value
      - .offset:         88
        .size:           8
        .value_kind:     by_value
      - .offset:         96
        .size:           8
        .value_kind:     by_value
      - .offset:         104
        .size:           8
        .value_kind:     by_value
      - .offset:         112
        .size:           8
        .value_kind:     by_value
      - .offset:         120
        .size:           1
        .value_kind:     by_value
    .group_segment_fixed_size: 2048
    .kernarg_segment_align: 8
    .kernarg_segment_size: 124
    .language:       OpenCL C
    .language_version:
      - 2
      - 0
    .max_flat_workgroup_size: 256
    .name:           _ZN9rocsparseL12csrilu0_hashILj256ELj64ELj1EdEEviPKiS2_PT2_S2_PiS2_S5_S5_d21rocsparse_index_base_imNS_24const_host_device_scalarIfEENS7_IdEENS7_IS3_EEb
    .private_segment_fixed_size: 0
    .sgpr_count:     42
    .sgpr_spill_count: 0
    .symbol:         _ZN9rocsparseL12csrilu0_hashILj256ELj64ELj1EdEEviPKiS2_PT2_S2_PiS2_S5_S5_d21rocsparse_index_base_imNS_24const_host_device_scalarIfEENS7_IdEENS7_IS3_EEb.kd
    .uniform_work_group_size: 1
    .uses_dynamic_stack: false
    .vgpr_count:     31
    .vgpr_spill_count: 0
    .wavefront_size: 32
    .workgroup_processor_mode: 1
  - .args:
      - .offset:         0
        .size:           4
        .value_kind:     by_value
      - .address_space:  global
        .offset:         8
        .size:           8
        .value_kind:     global_buffer
      - .address_space:  global
        .offset:         16
        .size:           8
        .value_kind:     global_buffer
      - .address_space:  global
        .offset:         24
        .size:           8
        .value_kind:     global_buffer
      - .address_space:  global
        .offset:         32
        .size:           8
        .value_kind:     global_buffer
      - .address_space:  global
        .offset:         40
        .size:           8
        .value_kind:     global_buffer
      - .address_space:  global
        .offset:         48
        .size:           8
        .value_kind:     global_buffer
      - .address_space:  global
        .offset:         56
        .size:           8
        .value_kind:     global_buffer
      - .address_space:  global
        .offset:         64
        .size:           8
        .value_kind:     global_buffer
      - .offset:         72
        .size:           8
        .value_kind:     by_value
      - .offset:         80
        .size:           4
        .value_kind:     by_value
      - .offset:         84
        .size:           4
        .value_kind:     by_value
      - .offset:         88
        .size:           8
        .value_kind:     by_value
      - .offset:         96
        .size:           8
        .value_kind:     by_value
      - .offset:         104
        .size:           8
        .value_kind:     by_value
      - .offset:         112
        .size:           8
        .value_kind:     by_value
      - .offset:         120
        .size:           1
        .value_kind:     by_value
    .group_segment_fixed_size: 4096
    .kernarg_segment_align: 8
    .kernarg_segment_size: 124
    .language:       OpenCL C
    .language_version:
      - 2
      - 0
    .max_flat_workgroup_size: 256
    .name:           _ZN9rocsparseL12csrilu0_hashILj256ELj64ELj2EdEEviPKiS2_PT2_S2_PiS2_S5_S5_d21rocsparse_index_base_imNS_24const_host_device_scalarIfEENS7_IdEENS7_IS3_EEb
    .private_segment_fixed_size: 0
    .sgpr_count:     42
    .sgpr_spill_count: 0
    .symbol:         _ZN9rocsparseL12csrilu0_hashILj256ELj64ELj2EdEEviPKiS2_PT2_S2_PiS2_S5_S5_d21rocsparse_index_base_imNS_24const_host_device_scalarIfEENS7_IdEENS7_IS3_EEb.kd
    .uniform_work_group_size: 1
    .uses_dynamic_stack: false
    .vgpr_count:     31
    .vgpr_spill_count: 0
    .wavefront_size: 32
    .workgroup_processor_mode: 1
  - .args:
      - .offset:         0
        .size:           4
        .value_kind:     by_value
      - .address_space:  global
        .offset:         8
        .size:           8
        .value_kind:     global_buffer
      - .address_space:  global
        .offset:         16
        .size:           8
        .value_kind:     global_buffer
      - .address_space:  global
        .offset:         24
        .size:           8
        .value_kind:     global_buffer
      - .address_space:  global
        .offset:         32
        .size:           8
        .value_kind:     global_buffer
      - .address_space:  global
        .offset:         40
        .size:           8
        .value_kind:     global_buffer
      - .address_space:  global
        .offset:         48
        .size:           8
        .value_kind:     global_buffer
      - .address_space:  global
        .offset:         56
        .size:           8
        .value_kind:     global_buffer
      - .address_space:  global
        .offset:         64
        .size:           8
        .value_kind:     global_buffer
      - .offset:         72
        .size:           8
        .value_kind:     by_value
      - .offset:         80
        .size:           4
        .value_kind:     by_value
      - .offset:         84
        .size:           4
        .value_kind:     by_value
      - .offset:         88
        .size:           8
        .value_kind:     by_value
      - .offset:         96
        .size:           8
        .value_kind:     by_value
      - .offset:         104
        .size:           8
        .value_kind:     by_value
      - .offset:         112
        .size:           8
        .value_kind:     by_value
      - .offset:         120
        .size:           1
        .value_kind:     by_value
    .group_segment_fixed_size: 8192
    .kernarg_segment_align: 8
    .kernarg_segment_size: 124
    .language:       OpenCL C
    .language_version:
      - 2
      - 0
    .max_flat_workgroup_size: 256
    .name:           _ZN9rocsparseL12csrilu0_hashILj256ELj64ELj4EdEEviPKiS2_PT2_S2_PiS2_S5_S5_d21rocsparse_index_base_imNS_24const_host_device_scalarIfEENS7_IdEENS7_IS3_EEb
    .private_segment_fixed_size: 0
    .sgpr_count:     42
    .sgpr_spill_count: 0
    .symbol:         _ZN9rocsparseL12csrilu0_hashILj256ELj64ELj4EdEEviPKiS2_PT2_S2_PiS2_S5_S5_d21rocsparse_index_base_imNS_24const_host_device_scalarIfEENS7_IdEENS7_IS3_EEb.kd
    .uniform_work_group_size: 1
    .uses_dynamic_stack: false
    .vgpr_count:     31
    .vgpr_spill_count: 0
    .wavefront_size: 32
    .workgroup_processor_mode: 1
  - .args:
      - .offset:         0
        .size:           4
        .value_kind:     by_value
      - .address_space:  global
        .offset:         8
        .size:           8
        .value_kind:     global_buffer
      - .address_space:  global
        .offset:         16
        .size:           8
        .value_kind:     global_buffer
      - .address_space:  global
        .offset:         24
        .size:           8
        .value_kind:     global_buffer
      - .address_space:  global
        .offset:         32
        .size:           8
        .value_kind:     global_buffer
      - .address_space:  global
        .offset:         40
        .size:           8
        .value_kind:     global_buffer
      - .address_space:  global
        .offset:         48
        .size:           8
        .value_kind:     global_buffer
      - .address_space:  global
        .offset:         56
        .size:           8
        .value_kind:     global_buffer
      - .address_space:  global
        .offset:         64
        .size:           8
        .value_kind:     global_buffer
      - .offset:         72
        .size:           8
        .value_kind:     by_value
      - .offset:         80
        .size:           4
        .value_kind:     by_value
      - .offset:         84
        .size:           4
        .value_kind:     by_value
      - .offset:         88
        .size:           8
        .value_kind:     by_value
      - .offset:         96
        .size:           8
        .value_kind:     by_value
      - .offset:         104
        .size:           8
        .value_kind:     by_value
      - .offset:         112
        .size:           8
        .value_kind:     by_value
      - .offset:         120
        .size:           1
        .value_kind:     by_value
    .group_segment_fixed_size: 16384
    .kernarg_segment_align: 8
    .kernarg_segment_size: 124
    .language:       OpenCL C
    .language_version:
      - 2
      - 0
    .max_flat_workgroup_size: 256
    .name:           _ZN9rocsparseL12csrilu0_hashILj256ELj64ELj8EdEEviPKiS2_PT2_S2_PiS2_S5_S5_d21rocsparse_index_base_imNS_24const_host_device_scalarIfEENS7_IdEENS7_IS3_EEb
    .private_segment_fixed_size: 0
    .sgpr_count:     42
    .sgpr_spill_count: 0
    .symbol:         _ZN9rocsparseL12csrilu0_hashILj256ELj64ELj8EdEEviPKiS2_PT2_S2_PiS2_S5_S5_d21rocsparse_index_base_imNS_24const_host_device_scalarIfEENS7_IdEENS7_IS3_EEb.kd
    .uniform_work_group_size: 1
    .uses_dynamic_stack: false
    .vgpr_count:     31
    .vgpr_spill_count: 0
    .wavefront_size: 32
    .workgroup_processor_mode: 1
  - .args:
      - .offset:         0
        .size:           4
        .value_kind:     by_value
      - .address_space:  global
        .offset:         8
        .size:           8
        .value_kind:     global_buffer
      - .address_space:  global
        .offset:         16
        .size:           8
        .value_kind:     global_buffer
      - .address_space:  global
        .offset:         24
        .size:           8
        .value_kind:     global_buffer
      - .address_space:  global
        .offset:         32
        .size:           8
        .value_kind:     global_buffer
      - .address_space:  global
        .offset:         40
        .size:           8
        .value_kind:     global_buffer
      - .address_space:  global
        .offset:         48
        .size:           8
        .value_kind:     global_buffer
      - .address_space:  global
        .offset:         56
        .size:           8
        .value_kind:     global_buffer
      - .address_space:  global
        .offset:         64
        .size:           8
        .value_kind:     global_buffer
      - .offset:         72
        .size:           8
        .value_kind:     by_value
      - .offset:         80
        .size:           4
        .value_kind:     by_value
      - .offset:         84
        .size:           4
        .value_kind:     by_value
      - .offset:         88
        .size:           8
        .value_kind:     by_value
      - .offset:         96
        .size:           8
        .value_kind:     by_value
      - .offset:         104
        .size:           8
        .value_kind:     by_value
      - .offset:         112
        .size:           8
        .value_kind:     by_value
      - .offset:         120
        .size:           1
        .value_kind:     by_value
    .group_segment_fixed_size: 32768
    .kernarg_segment_align: 8
    .kernarg_segment_size: 124
    .language:       OpenCL C
    .language_version:
      - 2
      - 0
    .max_flat_workgroup_size: 256
    .name:           _ZN9rocsparseL12csrilu0_hashILj256ELj64ELj16EdEEviPKiS2_PT2_S2_PiS2_S5_S5_d21rocsparse_index_base_imNS_24const_host_device_scalarIfEENS7_IdEENS7_IS3_EEb
    .private_segment_fixed_size: 0
    .sgpr_count:     42
    .sgpr_spill_count: 0
    .symbol:         _ZN9rocsparseL12csrilu0_hashILj256ELj64ELj16EdEEviPKiS2_PT2_S2_PiS2_S5_S5_d21rocsparse_index_base_imNS_24const_host_device_scalarIfEENS7_IdEENS7_IS3_EEb.kd
    .uniform_work_group_size: 1
    .uses_dynamic_stack: false
    .vgpr_count:     31
    .vgpr_spill_count: 0
    .wavefront_size: 32
    .workgroup_processor_mode: 1
  - .args:
      - .offset:         0
        .size:           4
        .value_kind:     by_value
      - .address_space:  global
        .offset:         8
        .size:           8
        .value_kind:     global_buffer
      - .address_space:  global
        .offset:         16
        .size:           8
        .value_kind:     global_buffer
      - .address_space:  global
        .offset:         24
        .size:           8
        .value_kind:     global_buffer
      - .address_space:  global
        .offset:         32
        .size:           8
        .value_kind:     global_buffer
      - .address_space:  global
        .offset:         40
        .size:           8
        .value_kind:     global_buffer
      - .address_space:  global
        .offset:         48
        .size:           8
        .value_kind:     global_buffer
      - .address_space:  global
        .offset:         56
        .size:           8
        .value_kind:     global_buffer
      - .address_space:  global
        .offset:         64
        .size:           8
        .value_kind:     global_buffer
      - .offset:         72
        .size:           8
        .value_kind:     by_value
      - .offset:         80
        .size:           4
        .value_kind:     by_value
      - .offset:         84
        .size:           4
        .value_kind:     by_value
      - .offset:         88
        .size:           8
        .value_kind:     by_value
      - .offset:         96
        .size:           8
        .value_kind:     by_value
      - .offset:         104
        .size:           8
        .value_kind:     by_value
      - .offset:         112
        .size:           8
        .value_kind:     by_value
      - .offset:         120
        .size:           1
        .value_kind:     by_value
    .group_segment_fixed_size: 0
    .kernarg_segment_align: 8
    .kernarg_segment_size: 124
    .language:       OpenCL C
    .language_version:
      - 2
      - 0
    .max_flat_workgroup_size: 256
    .name:           _ZN9rocsparseL17csrilu0_binsearchILj256ELj64ELb0EdEEviPKiS2_PT2_S2_PiS2_S5_S5_d21rocsparse_index_base_imNS_24const_host_device_scalarIfEENS7_IdEENS7_IS3_EEb
    .private_segment_fixed_size: 0
    .sgpr_count:     34
    .sgpr_spill_count: 0
    .symbol:         _ZN9rocsparseL17csrilu0_binsearchILj256ELj64ELb0EdEEviPKiS2_PT2_S2_PiS2_S5_S5_d21rocsparse_index_base_imNS_24const_host_device_scalarIfEENS7_IdEENS7_IS3_EEb.kd
    .uniform_work_group_size: 1
    .uses_dynamic_stack: false
    .vgpr_count:     30
    .vgpr_spill_count: 0
    .wavefront_size: 32
    .workgroup_processor_mode: 1
  - .args:
      - .offset:         0
        .size:           4
        .value_kind:     by_value
      - .address_space:  global
        .offset:         8
        .size:           8
        .value_kind:     global_buffer
      - .address_space:  global
        .offset:         16
        .size:           8
        .value_kind:     global_buffer
      - .address_space:  global
        .offset:         24
        .size:           8
        .value_kind:     global_buffer
      - .address_space:  global
        .offset:         32
        .size:           8
        .value_kind:     global_buffer
      - .address_space:  global
        .offset:         40
        .size:           8
        .value_kind:     global_buffer
      - .address_space:  global
        .offset:         48
        .size:           8
        .value_kind:     global_buffer
      - .address_space:  global
        .offset:         56
        .size:           8
        .value_kind:     global_buffer
      - .address_space:  global
        .offset:         64
        .size:           8
        .value_kind:     global_buffer
      - .offset:         72
        .size:           8
        .value_kind:     by_value
      - .offset:         80
        .size:           4
        .value_kind:     by_value
      - .offset:         84
        .size:           4
        .value_kind:     by_value
      - .offset:         88
        .size:           8
        .value_kind:     by_value
      - .offset:         96
        .size:           8
        .value_kind:     by_value
      - .offset:         104
        .size:           8
        .value_kind:     by_value
      - .offset:         112
        .size:           8
        .value_kind:     by_value
      - .offset:         120
        .size:           1
        .value_kind:     by_value
    .group_segment_fixed_size: 0
    .kernarg_segment_align: 8
    .kernarg_segment_size: 124
    .language:       OpenCL C
    .language_version:
      - 2
      - 0
    .max_flat_workgroup_size: 256
    .name:           _ZN9rocsparseL17csrilu0_binsearchILj256ELj64ELb1E21rocsparse_complex_numIfEEEviPKiS4_PT2_S4_PiS4_S7_S7_d21rocsparse_index_base_imNS_24const_host_device_scalarIfEENS9_IdEENS9_IS5_EEb
    .private_segment_fixed_size: 0
    .sgpr_count:     34
    .sgpr_spill_count: 0
    .symbol:         _ZN9rocsparseL17csrilu0_binsearchILj256ELj64ELb1E21rocsparse_complex_numIfEEEviPKiS4_PT2_S4_PiS4_S7_S7_d21rocsparse_index_base_imNS_24const_host_device_scalarIfEENS9_IdEENS9_IS5_EEb.kd
    .uniform_work_group_size: 1
    .uses_dynamic_stack: false
    .vgpr_count:     26
    .vgpr_spill_count: 0
    .wavefront_size: 32
    .workgroup_processor_mode: 1
  - .args:
      - .offset:         0
        .size:           4
        .value_kind:     by_value
      - .address_space:  global
        .offset:         8
        .size:           8
        .value_kind:     global_buffer
      - .address_space:  global
        .offset:         16
        .size:           8
        .value_kind:     global_buffer
      - .address_space:  global
        .offset:         24
        .size:           8
        .value_kind:     global_buffer
      - .address_space:  global
        .offset:         32
        .size:           8
        .value_kind:     global_buffer
      - .address_space:  global
        .offset:         40
        .size:           8
        .value_kind:     global_buffer
      - .address_space:  global
        .offset:         48
        .size:           8
        .value_kind:     global_buffer
      - .address_space:  global
        .offset:         56
        .size:           8
        .value_kind:     global_buffer
      - .address_space:  global
        .offset:         64
        .size:           8
        .value_kind:     global_buffer
      - .offset:         72
        .size:           8
        .value_kind:     by_value
      - .offset:         80
        .size:           4
        .value_kind:     by_value
      - .offset:         84
        .size:           4
        .value_kind:     by_value
      - .offset:         88
        .size:           8
        .value_kind:     by_value
      - .offset:         96
        .size:           8
        .value_kind:     by_value
      - .offset:         104
        .size:           8
        .value_kind:     by_value
      - .offset:         112
        .size:           8
        .value_kind:     by_value
      - .offset:         120
        .size:           1
        .value_kind:     by_value
    .group_segment_fixed_size: 2048
    .kernarg_segment_align: 8
    .kernarg_segment_size: 124
    .language:       OpenCL C
    .language_version:
      - 2
      - 0
    .max_flat_workgroup_size: 256
    .name:           _ZN9rocsparseL12csrilu0_hashILj256ELj32ELj1E21rocsparse_complex_numIfEEEviPKiS4_PT2_S4_PiS4_S7_S7_d21rocsparse_index_base_imNS_24const_host_device_scalarIfEENS9_IdEENS9_IS5_EEb
    .private_segment_fixed_size: 0
    .sgpr_count:     43
    .sgpr_spill_count: 0
    .symbol:         _ZN9rocsparseL12csrilu0_hashILj256ELj32ELj1E21rocsparse_complex_numIfEEEviPKiS4_PT2_S4_PiS4_S7_S7_d21rocsparse_index_base_imNS_24const_host_device_scalarIfEENS9_IdEENS9_IS5_EEb.kd
    .uniform_work_group_size: 1
    .uses_dynamic_stack: false
    .vgpr_count:     27
    .vgpr_spill_count: 0
    .wavefront_size: 32
    .workgroup_processor_mode: 1
  - .args:
      - .offset:         0
        .size:           4
        .value_kind:     by_value
      - .address_space:  global
        .offset:         8
        .size:           8
        .value_kind:     global_buffer
      - .address_space:  global
        .offset:         16
        .size:           8
        .value_kind:     global_buffer
      - .address_space:  global
        .offset:         24
        .size:           8
        .value_kind:     global_buffer
      - .address_space:  global
        .offset:         32
        .size:           8
        .value_kind:     global_buffer
      - .address_space:  global
        .offset:         40
        .size:           8
        .value_kind:     global_buffer
      - .address_space:  global
        .offset:         48
        .size:           8
        .value_kind:     global_buffer
      - .address_space:  global
        .offset:         56
        .size:           8
        .value_kind:     global_buffer
      - .address_space:  global
        .offset:         64
        .size:           8
        .value_kind:     global_buffer
      - .offset:         72
        .size:           8
        .value_kind:     by_value
      - .offset:         80
        .size:           4
        .value_kind:     by_value
      - .offset:         84
        .size:           4
        .value_kind:     by_value
      - .offset:         88
        .size:           8
        .value_kind:     by_value
      - .offset:         96
        .size:           8
        .value_kind:     by_value
      - .offset:         104
        .size:           8
        .value_kind:     by_value
      - .offset:         112
        .size:           8
        .value_kind:     by_value
      - .offset:         120
        .size:           1
        .value_kind:     by_value
    .group_segment_fixed_size: 4096
    .kernarg_segment_align: 8
    .kernarg_segment_size: 124
    .language:       OpenCL C
    .language_version:
      - 2
      - 0
    .max_flat_workgroup_size: 256
    .name:           _ZN9rocsparseL12csrilu0_hashILj256ELj32ELj2E21rocsparse_complex_numIfEEEviPKiS4_PT2_S4_PiS4_S7_S7_d21rocsparse_index_base_imNS_24const_host_device_scalarIfEENS9_IdEENS9_IS5_EEb
    .private_segment_fixed_size: 0
    .sgpr_count:     43
    .sgpr_spill_count: 0
    .symbol:         _ZN9rocsparseL12csrilu0_hashILj256ELj32ELj2E21rocsparse_complex_numIfEEEviPKiS4_PT2_S4_PiS4_S7_S7_d21rocsparse_index_base_imNS_24const_host_device_scalarIfEENS9_IdEENS9_IS5_EEb.kd
    .uniform_work_group_size: 1
    .uses_dynamic_stack: false
    .vgpr_count:     27
    .vgpr_spill_count: 0
    .wavefront_size: 32
    .workgroup_processor_mode: 1
  - .args:
      - .offset:         0
        .size:           4
        .value_kind:     by_value
      - .address_space:  global
        .offset:         8
        .size:           8
        .value_kind:     global_buffer
      - .address_space:  global
        .offset:         16
        .size:           8
        .value_kind:     global_buffer
      - .address_space:  global
        .offset:         24
        .size:           8
        .value_kind:     global_buffer
      - .address_space:  global
        .offset:         32
        .size:           8
        .value_kind:     global_buffer
      - .address_space:  global
        .offset:         40
        .size:           8
        .value_kind:     global_buffer
      - .address_space:  global
        .offset:         48
        .size:           8
        .value_kind:     global_buffer
      - .address_space:  global
        .offset:         56
        .size:           8
        .value_kind:     global_buffer
      - .address_space:  global
        .offset:         64
        .size:           8
        .value_kind:     global_buffer
      - .offset:         72
        .size:           8
        .value_kind:     by_value
      - .offset:         80
        .size:           4
        .value_kind:     by_value
      - .offset:         84
        .size:           4
        .value_kind:     by_value
      - .offset:         88
        .size:           8
        .value_kind:     by_value
      - .offset:         96
        .size:           8
        .value_kind:     by_value
      - .offset:         104
        .size:           8
        .value_kind:     by_value
      - .offset:         112
        .size:           8
        .value_kind:     by_value
      - .offset:         120
        .size:           1
        .value_kind:     by_value
    .group_segment_fixed_size: 8192
    .kernarg_segment_align: 8
    .kernarg_segment_size: 124
    .language:       OpenCL C
    .language_version:
      - 2
      - 0
    .max_flat_workgroup_size: 256
    .name:           _ZN9rocsparseL12csrilu0_hashILj256ELj32ELj4E21rocsparse_complex_numIfEEEviPKiS4_PT2_S4_PiS4_S7_S7_d21rocsparse_index_base_imNS_24const_host_device_scalarIfEENS9_IdEENS9_IS5_EEb
    .private_segment_fixed_size: 0
    .sgpr_count:     43
    .sgpr_spill_count: 0
    .symbol:         _ZN9rocsparseL12csrilu0_hashILj256ELj32ELj4E21rocsparse_complex_numIfEEEviPKiS4_PT2_S4_PiS4_S7_S7_d21rocsparse_index_base_imNS_24const_host_device_scalarIfEENS9_IdEENS9_IS5_EEb.kd
    .uniform_work_group_size: 1
    .uses_dynamic_stack: false
    .vgpr_count:     27
    .vgpr_spill_count: 0
    .wavefront_size: 32
    .workgroup_processor_mode: 1
  - .args:
      - .offset:         0
        .size:           4
        .value_kind:     by_value
      - .address_space:  global
        .offset:         8
        .size:           8
        .value_kind:     global_buffer
      - .address_space:  global
        .offset:         16
        .size:           8
        .value_kind:     global_buffer
      - .address_space:  global
        .offset:         24
        .size:           8
        .value_kind:     global_buffer
      - .address_space:  global
        .offset:         32
        .size:           8
        .value_kind:     global_buffer
      - .address_space:  global
        .offset:         40
        .size:           8
        .value_kind:     global_buffer
      - .address_space:  global
        .offset:         48
        .size:           8
        .value_kind:     global_buffer
      - .address_space:  global
        .offset:         56
        .size:           8
        .value_kind:     global_buffer
      - .address_space:  global
        .offset:         64
        .size:           8
        .value_kind:     global_buffer
      - .offset:         72
        .size:           8
        .value_kind:     by_value
      - .offset:         80
        .size:           4
        .value_kind:     by_value
      - .offset:         84
        .size:           4
        .value_kind:     by_value
      - .offset:         88
        .size:           8
        .value_kind:     by_value
      - .offset:         96
        .size:           8
        .value_kind:     by_value
      - .offset:         104
        .size:           8
        .value_kind:     by_value
      - .offset:         112
        .size:           8
        .value_kind:     by_value
      - .offset:         120
        .size:           1
        .value_kind:     by_value
    .group_segment_fixed_size: 16384
    .kernarg_segment_align: 8
    .kernarg_segment_size: 124
    .language:       OpenCL C
    .language_version:
      - 2
      - 0
    .max_flat_workgroup_size: 256
    .name:           _ZN9rocsparseL12csrilu0_hashILj256ELj32ELj8E21rocsparse_complex_numIfEEEviPKiS4_PT2_S4_PiS4_S7_S7_d21rocsparse_index_base_imNS_24const_host_device_scalarIfEENS9_IdEENS9_IS5_EEb
    .private_segment_fixed_size: 0
    .sgpr_count:     43
    .sgpr_spill_count: 0
    .symbol:         _ZN9rocsparseL12csrilu0_hashILj256ELj32ELj8E21rocsparse_complex_numIfEEEviPKiS4_PT2_S4_PiS4_S7_S7_d21rocsparse_index_base_imNS_24const_host_device_scalarIfEENS9_IdEENS9_IS5_EEb.kd
    .uniform_work_group_size: 1
    .uses_dynamic_stack: false
    .vgpr_count:     27
    .vgpr_spill_count: 0
    .wavefront_size: 32
    .workgroup_processor_mode: 1
  - .args:
      - .offset:         0
        .size:           4
        .value_kind:     by_value
      - .address_space:  global
        .offset:         8
        .size:           8
        .value_kind:     global_buffer
      - .address_space:  global
        .offset:         16
        .size:           8
        .value_kind:     global_buffer
      - .address_space:  global
        .offset:         24
        .size:           8
        .value_kind:     global_buffer
      - .address_space:  global
        .offset:         32
        .size:           8
        .value_kind:     global_buffer
      - .address_space:  global
        .offset:         40
        .size:           8
        .value_kind:     global_buffer
      - .address_space:  global
        .offset:         48
        .size:           8
        .value_kind:     global_buffer
      - .address_space:  global
        .offset:         56
        .size:           8
        .value_kind:     global_buffer
      - .address_space:  global
        .offset:         64
        .size:           8
        .value_kind:     global_buffer
      - .offset:         72
        .size:           8
        .value_kind:     by_value
      - .offset:         80
        .size:           4
        .value_kind:     by_value
      - .offset:         84
        .size:           4
        .value_kind:     by_value
      - .offset:         88
        .size:           8
        .value_kind:     by_value
      - .offset:         96
        .size:           8
        .value_kind:     by_value
      - .offset:         104
        .size:           8
        .value_kind:     by_value
      - .offset:         112
        .size:           8
        .value_kind:     by_value
      - .offset:         120
        .size:           1
        .value_kind:     by_value
    .group_segment_fixed_size: 32768
    .kernarg_segment_align: 8
    .kernarg_segment_size: 124
    .language:       OpenCL C
    .language_version:
      - 2
      - 0
    .max_flat_workgroup_size: 256
    .name:           _ZN9rocsparseL12csrilu0_hashILj256ELj32ELj16E21rocsparse_complex_numIfEEEviPKiS4_PT2_S4_PiS4_S7_S7_d21rocsparse_index_base_imNS_24const_host_device_scalarIfEENS9_IdEENS9_IS5_EEb
    .private_segment_fixed_size: 0
    .sgpr_count:     43
    .sgpr_spill_count: 0
    .symbol:         _ZN9rocsparseL12csrilu0_hashILj256ELj32ELj16E21rocsparse_complex_numIfEEEviPKiS4_PT2_S4_PiS4_S7_S7_d21rocsparse_index_base_imNS_24const_host_device_scalarIfEENS9_IdEENS9_IS5_EEb.kd
    .uniform_work_group_size: 1
    .uses_dynamic_stack: false
    .vgpr_count:     27
    .vgpr_spill_count: 0
    .wavefront_size: 32
    .workgroup_processor_mode: 1
  - .args:
      - .offset:         0
        .size:           4
        .value_kind:     by_value
      - .address_space:  global
        .offset:         8
        .size:           8
        .value_kind:     global_buffer
      - .address_space:  global
        .offset:         16
        .size:           8
        .value_kind:     global_buffer
      - .address_space:  global
        .offset:         24
        .size:           8
        .value_kind:     global_buffer
      - .address_space:  global
        .offset:         32
        .size:           8
        .value_kind:     global_buffer
      - .address_space:  global
        .offset:         40
        .size:           8
        .value_kind:     global_buffer
      - .address_space:  global
        .offset:         48
        .size:           8
        .value_kind:     global_buffer
      - .address_space:  global
        .offset:         56
        .size:           8
        .value_kind:     global_buffer
      - .address_space:  global
        .offset:         64
        .size:           8
        .value_kind:     global_buffer
      - .offset:         72
        .size:           8
        .value_kind:     by_value
      - .offset:         80
        .size:           4
        .value_kind:     by_value
      - .offset:         84
        .size:           4
        .value_kind:     by_value
      - .offset:         88
        .size:           8
        .value_kind:     by_value
      - .offset:         96
        .size:           8
        .value_kind:     by_value
      - .offset:         104
        .size:           8
        .value_kind:     by_value
      - .offset:         112
        .size:           8
        .value_kind:     by_value
      - .offset:         120
        .size:           1
        .value_kind:     by_value
    .group_segment_fixed_size: 0
    .kernarg_segment_align: 8
    .kernarg_segment_size: 124
    .language:       OpenCL C
    .language_version:
      - 2
      - 0
    .max_flat_workgroup_size: 256
    .name:           _ZN9rocsparseL17csrilu0_binsearchILj256ELj32ELb0E21rocsparse_complex_numIfEEEviPKiS4_PT2_S4_PiS4_S7_S7_d21rocsparse_index_base_imNS_24const_host_device_scalarIfEENS9_IdEENS9_IS5_EEb
    .private_segment_fixed_size: 0
    .sgpr_count:     34
    .sgpr_spill_count: 0
    .symbol:         _ZN9rocsparseL17csrilu0_binsearchILj256ELj32ELb0E21rocsparse_complex_numIfEEEviPKiS4_PT2_S4_PiS4_S7_S7_d21rocsparse_index_base_imNS_24const_host_device_scalarIfEENS9_IdEENS9_IS5_EEb.kd
    .uniform_work_group_size: 1
    .uses_dynamic_stack: false
    .vgpr_count:     26
    .vgpr_spill_count: 0
    .wavefront_size: 32
    .workgroup_processor_mode: 1
  - .args:
      - .offset:         0
        .size:           4
        .value_kind:     by_value
      - .address_space:  global
        .offset:         8
        .size:           8
        .value_kind:     global_buffer
      - .address_space:  global
        .offset:         16
        .size:           8
        .value_kind:     global_buffer
      - .address_space:  global
        .offset:         24
        .size:           8
        .value_kind:     global_buffer
      - .address_space:  global
        .offset:         32
        .size:           8
        .value_kind:     global_buffer
      - .address_space:  global
        .offset:         40
        .size:           8
        .value_kind:     global_buffer
      - .address_space:  global
        .offset:         48
        .size:           8
        .value_kind:     global_buffer
      - .address_space:  global
        .offset:         56
        .size:           8
        .value_kind:     global_buffer
      - .address_space:  global
        .offset:         64
        .size:           8
        .value_kind:     global_buffer
      - .offset:         72
        .size:           8
        .value_kind:     by_value
      - .offset:         80
        .size:           4
        .value_kind:     by_value
      - .offset:         84
        .size:           4
        .value_kind:     by_value
      - .offset:         88
        .size:           8
        .value_kind:     by_value
      - .offset:         96
        .size:           8
        .value_kind:     by_value
      - .offset:         104
        .size:           8
        .value_kind:     by_value
      - .offset:         112
        .size:           8
        .value_kind:     by_value
      - .offset:         120
        .size:           1
        .value_kind:     by_value
    .group_segment_fixed_size: 2048
    .kernarg_segment_align: 8
    .kernarg_segment_size: 124
    .language:       OpenCL C
    .language_version:
      - 2
      - 0
    .max_flat_workgroup_size: 256
    .name:           _ZN9rocsparseL12csrilu0_hashILj256ELj64ELj1E21rocsparse_complex_numIfEEEviPKiS4_PT2_S4_PiS4_S7_S7_d21rocsparse_index_base_imNS_24const_host_device_scalarIfEENS9_IdEENS9_IS5_EEb
    .private_segment_fixed_size: 0
    .sgpr_count:     43
    .sgpr_spill_count: 0
    .symbol:         _ZN9rocsparseL12csrilu0_hashILj256ELj64ELj1E21rocsparse_complex_numIfEEEviPKiS4_PT2_S4_PiS4_S7_S7_d21rocsparse_index_base_imNS_24const_host_device_scalarIfEENS9_IdEENS9_IS5_EEb.kd
    .uniform_work_group_size: 1
    .uses_dynamic_stack: false
    .vgpr_count:     27
    .vgpr_spill_count: 0
    .wavefront_size: 32
    .workgroup_processor_mode: 1
  - .args:
      - .offset:         0
        .size:           4
        .value_kind:     by_value
      - .address_space:  global
        .offset:         8
        .size:           8
        .value_kind:     global_buffer
      - .address_space:  global
        .offset:         16
        .size:           8
        .value_kind:     global_buffer
      - .address_space:  global
        .offset:         24
        .size:           8
        .value_kind:     global_buffer
      - .address_space:  global
        .offset:         32
        .size:           8
        .value_kind:     global_buffer
      - .address_space:  global
        .offset:         40
        .size:           8
        .value_kind:     global_buffer
      - .address_space:  global
        .offset:         48
        .size:           8
        .value_kind:     global_buffer
      - .address_space:  global
        .offset:         56
        .size:           8
        .value_kind:     global_buffer
      - .address_space:  global
        .offset:         64
        .size:           8
        .value_kind:     global_buffer
      - .offset:         72
        .size:           8
        .value_kind:     by_value
      - .offset:         80
        .size:           4
        .value_kind:     by_value
      - .offset:         84
        .size:           4
        .value_kind:     by_value
      - .offset:         88
        .size:           8
        .value_kind:     by_value
      - .offset:         96
        .size:           8
        .value_kind:     by_value
      - .offset:         104
        .size:           8
        .value_kind:     by_value
      - .offset:         112
        .size:           8
        .value_kind:     by_value
      - .offset:         120
        .size:           1
        .value_kind:     by_value
    .group_segment_fixed_size: 4096
    .kernarg_segment_align: 8
    .kernarg_segment_size: 124
    .language:       OpenCL C
    .language_version:
      - 2
      - 0
    .max_flat_workgroup_size: 256
    .name:           _ZN9rocsparseL12csrilu0_hashILj256ELj64ELj2E21rocsparse_complex_numIfEEEviPKiS4_PT2_S4_PiS4_S7_S7_d21rocsparse_index_base_imNS_24const_host_device_scalarIfEENS9_IdEENS9_IS5_EEb
    .private_segment_fixed_size: 0
    .sgpr_count:     43
    .sgpr_spill_count: 0
    .symbol:         _ZN9rocsparseL12csrilu0_hashILj256ELj64ELj2E21rocsparse_complex_numIfEEEviPKiS4_PT2_S4_PiS4_S7_S7_d21rocsparse_index_base_imNS_24const_host_device_scalarIfEENS9_IdEENS9_IS5_EEb.kd
    .uniform_work_group_size: 1
    .uses_dynamic_stack: false
    .vgpr_count:     27
    .vgpr_spill_count: 0
    .wavefront_size: 32
    .workgroup_processor_mode: 1
  - .args:
      - .offset:         0
        .size:           4
        .value_kind:     by_value
      - .address_space:  global
        .offset:         8
        .size:           8
        .value_kind:     global_buffer
      - .address_space:  global
        .offset:         16
        .size:           8
        .value_kind:     global_buffer
      - .address_space:  global
        .offset:         24
        .size:           8
        .value_kind:     global_buffer
      - .address_space:  global
        .offset:         32
        .size:           8
        .value_kind:     global_buffer
      - .address_space:  global
        .offset:         40
        .size:           8
        .value_kind:     global_buffer
      - .address_space:  global
        .offset:         48
        .size:           8
        .value_kind:     global_buffer
      - .address_space:  global
        .offset:         56
        .size:           8
        .value_kind:     global_buffer
      - .address_space:  global
        .offset:         64
        .size:           8
        .value_kind:     global_buffer
      - .offset:         72
        .size:           8
        .value_kind:     by_value
      - .offset:         80
        .size:           4
        .value_kind:     by_value
      - .offset:         84
        .size:           4
        .value_kind:     by_value
      - .offset:         88
        .size:           8
        .value_kind:     by_value
      - .offset:         96
        .size:           8
        .value_kind:     by_value
      - .offset:         104
        .size:           8
        .value_kind:     by_value
      - .offset:         112
        .size:           8
        .value_kind:     by_value
      - .offset:         120
        .size:           1
        .value_kind:     by_value
    .group_segment_fixed_size: 8192
    .kernarg_segment_align: 8
    .kernarg_segment_size: 124
    .language:       OpenCL C
    .language_version:
      - 2
      - 0
    .max_flat_workgroup_size: 256
    .name:           _ZN9rocsparseL12csrilu0_hashILj256ELj64ELj4E21rocsparse_complex_numIfEEEviPKiS4_PT2_S4_PiS4_S7_S7_d21rocsparse_index_base_imNS_24const_host_device_scalarIfEENS9_IdEENS9_IS5_EEb
    .private_segment_fixed_size: 0
    .sgpr_count:     43
    .sgpr_spill_count: 0
    .symbol:         _ZN9rocsparseL12csrilu0_hashILj256ELj64ELj4E21rocsparse_complex_numIfEEEviPKiS4_PT2_S4_PiS4_S7_S7_d21rocsparse_index_base_imNS_24const_host_device_scalarIfEENS9_IdEENS9_IS5_EEb.kd
    .uniform_work_group_size: 1
    .uses_dynamic_stack: false
    .vgpr_count:     27
    .vgpr_spill_count: 0
    .wavefront_size: 32
    .workgroup_processor_mode: 1
  - .args:
      - .offset:         0
        .size:           4
        .value_kind:     by_value
      - .address_space:  global
        .offset:         8
        .size:           8
        .value_kind:     global_buffer
      - .address_space:  global
        .offset:         16
        .size:           8
        .value_kind:     global_buffer
      - .address_space:  global
        .offset:         24
        .size:           8
        .value_kind:     global_buffer
      - .address_space:  global
        .offset:         32
        .size:           8
        .value_kind:     global_buffer
      - .address_space:  global
        .offset:         40
        .size:           8
        .value_kind:     global_buffer
      - .address_space:  global
        .offset:         48
        .size:           8
        .value_kind:     global_buffer
      - .address_space:  global
        .offset:         56
        .size:           8
        .value_kind:     global_buffer
      - .address_space:  global
        .offset:         64
        .size:           8
        .value_kind:     global_buffer
      - .offset:         72
        .size:           8
        .value_kind:     by_value
      - .offset:         80
        .size:           4
        .value_kind:     by_value
      - .offset:         84
        .size:           4
        .value_kind:     by_value
      - .offset:         88
        .size:           8
        .value_kind:     by_value
      - .offset:         96
        .size:           8
        .value_kind:     by_value
      - .offset:         104
        .size:           8
        .value_kind:     by_value
      - .offset:         112
        .size:           8
        .value_kind:     by_value
      - .offset:         120
        .size:           1
        .value_kind:     by_value
    .group_segment_fixed_size: 16384
    .kernarg_segment_align: 8
    .kernarg_segment_size: 124
    .language:       OpenCL C
    .language_version:
      - 2
      - 0
    .max_flat_workgroup_size: 256
    .name:           _ZN9rocsparseL12csrilu0_hashILj256ELj64ELj8E21rocsparse_complex_numIfEEEviPKiS4_PT2_S4_PiS4_S7_S7_d21rocsparse_index_base_imNS_24const_host_device_scalarIfEENS9_IdEENS9_IS5_EEb
    .private_segment_fixed_size: 0
    .sgpr_count:     43
    .sgpr_spill_count: 0
    .symbol:         _ZN9rocsparseL12csrilu0_hashILj256ELj64ELj8E21rocsparse_complex_numIfEEEviPKiS4_PT2_S4_PiS4_S7_S7_d21rocsparse_index_base_imNS_24const_host_device_scalarIfEENS9_IdEENS9_IS5_EEb.kd
    .uniform_work_group_size: 1
    .uses_dynamic_stack: false
    .vgpr_count:     27
    .vgpr_spill_count: 0
    .wavefront_size: 32
    .workgroup_processor_mode: 1
  - .args:
      - .offset:         0
        .size:           4
        .value_kind:     by_value
      - .address_space:  global
        .offset:         8
        .size:           8
        .value_kind:     global_buffer
      - .address_space:  global
        .offset:         16
        .size:           8
        .value_kind:     global_buffer
      - .address_space:  global
        .offset:         24
        .size:           8
        .value_kind:     global_buffer
      - .address_space:  global
        .offset:         32
        .size:           8
        .value_kind:     global_buffer
      - .address_space:  global
        .offset:         40
        .size:           8
        .value_kind:     global_buffer
      - .address_space:  global
        .offset:         48
        .size:           8
        .value_kind:     global_buffer
      - .address_space:  global
        .offset:         56
        .size:           8
        .value_kind:     global_buffer
      - .address_space:  global
        .offset:         64
        .size:           8
        .value_kind:     global_buffer
      - .offset:         72
        .size:           8
        .value_kind:     by_value
      - .offset:         80
        .size:           4
        .value_kind:     by_value
      - .offset:         84
        .size:           4
        .value_kind:     by_value
      - .offset:         88
        .size:           8
        .value_kind:     by_value
      - .offset:         96
        .size:           8
        .value_kind:     by_value
      - .offset:         104
        .size:           8
        .value_kind:     by_value
      - .offset:         112
        .size:           8
        .value_kind:     by_value
      - .offset:         120
        .size:           1
        .value_kind:     by_value
    .group_segment_fixed_size: 32768
    .kernarg_segment_align: 8
    .kernarg_segment_size: 124
    .language:       OpenCL C
    .language_version:
      - 2
      - 0
    .max_flat_workgroup_size: 256
    .name:           _ZN9rocsparseL12csrilu0_hashILj256ELj64ELj16E21rocsparse_complex_numIfEEEviPKiS4_PT2_S4_PiS4_S7_S7_d21rocsparse_index_base_imNS_24const_host_device_scalarIfEENS9_IdEENS9_IS5_EEb
    .private_segment_fixed_size: 0
    .sgpr_count:     43
    .sgpr_spill_count: 0
    .symbol:         _ZN9rocsparseL12csrilu0_hashILj256ELj64ELj16E21rocsparse_complex_numIfEEEviPKiS4_PT2_S4_PiS4_S7_S7_d21rocsparse_index_base_imNS_24const_host_device_scalarIfEENS9_IdEENS9_IS5_EEb.kd
    .uniform_work_group_size: 1
    .uses_dynamic_stack: false
    .vgpr_count:     27
    .vgpr_spill_count: 0
    .wavefront_size: 32
    .workgroup_processor_mode: 1
  - .args:
      - .offset:         0
        .size:           4
        .value_kind:     by_value
      - .address_space:  global
        .offset:         8
        .size:           8
        .value_kind:     global_buffer
      - .address_space:  global
        .offset:         16
        .size:           8
        .value_kind:     global_buffer
      - .address_space:  global
        .offset:         24
        .size:           8
        .value_kind:     global_buffer
      - .address_space:  global
        .offset:         32
        .size:           8
        .value_kind:     global_buffer
      - .address_space:  global
        .offset:         40
        .size:           8
        .value_kind:     global_buffer
      - .address_space:  global
        .offset:         48
        .size:           8
        .value_kind:     global_buffer
      - .address_space:  global
        .offset:         56
        .size:           8
        .value_kind:     global_buffer
      - .address_space:  global
        .offset:         64
        .size:           8
        .value_kind:     global_buffer
      - .offset:         72
        .size:           8
        .value_kind:     by_value
      - .offset:         80
        .size:           4
        .value_kind:     by_value
      - .offset:         84
        .size:           4
        .value_kind:     by_value
      - .offset:         88
        .size:           8
        .value_kind:     by_value
      - .offset:         96
        .size:           8
        .value_kind:     by_value
      - .offset:         104
        .size:           8
        .value_kind:     by_value
      - .offset:         112
        .size:           8
        .value_kind:     by_value
      - .offset:         120
        .size:           1
        .value_kind:     by_value
    .group_segment_fixed_size: 0
    .kernarg_segment_align: 8
    .kernarg_segment_size: 124
    .language:       OpenCL C
    .language_version:
      - 2
      - 0
    .max_flat_workgroup_size: 256
    .name:           _ZN9rocsparseL17csrilu0_binsearchILj256ELj64ELb0E21rocsparse_complex_numIfEEEviPKiS4_PT2_S4_PiS4_S7_S7_d21rocsparse_index_base_imNS_24const_host_device_scalarIfEENS9_IdEENS9_IS5_EEb
    .private_segment_fixed_size: 0
    .sgpr_count:     34
    .sgpr_spill_count: 0
    .symbol:         _ZN9rocsparseL17csrilu0_binsearchILj256ELj64ELb0E21rocsparse_complex_numIfEEEviPKiS4_PT2_S4_PiS4_S7_S7_d21rocsparse_index_base_imNS_24const_host_device_scalarIfEENS9_IdEENS9_IS5_EEb.kd
    .uniform_work_group_size: 1
    .uses_dynamic_stack: false
    .vgpr_count:     26
    .vgpr_spill_count: 0
    .wavefront_size: 32
    .workgroup_processor_mode: 1
  - .args:
      - .offset:         0
        .size:           4
        .value_kind:     by_value
      - .address_space:  global
        .offset:         8
        .size:           8
        .value_kind:     global_buffer
      - .address_space:  global
        .offset:         16
        .size:           8
        .value_kind:     global_buffer
      - .address_space:  global
        .offset:         24
        .size:           8
        .value_kind:     global_buffer
      - .address_space:  global
        .offset:         32
        .size:           8
        .value_kind:     global_buffer
      - .address_space:  global
        .offset:         40
        .size:           8
        .value_kind:     global_buffer
      - .address_space:  global
        .offset:         48
        .size:           8
        .value_kind:     global_buffer
      - .address_space:  global
        .offset:         56
        .size:           8
        .value_kind:     global_buffer
      - .address_space:  global
        .offset:         64
        .size:           8
        .value_kind:     global_buffer
      - .offset:         72
        .size:           8
        .value_kind:     by_value
      - .offset:         80
        .size:           4
        .value_kind:     by_value
      - .offset:         84
        .size:           4
        .value_kind:     by_value
      - .offset:         88
        .size:           8
        .value_kind:     by_value
      - .offset:         96
        .size:           8
        .value_kind:     by_value
      - .offset:         104
        .size:           8
        .value_kind:     by_value
      - .offset:         112
        .size:           16
        .value_kind:     by_value
      - .offset:         128
        .size:           1
        .value_kind:     by_value
    .group_segment_fixed_size: 0
    .kernarg_segment_align: 8
    .kernarg_segment_size: 132
    .language:       OpenCL C
    .language_version:
      - 2
      - 0
    .max_flat_workgroup_size: 256
    .name:           _ZN9rocsparseL17csrilu0_binsearchILj256ELj64ELb1E21rocsparse_complex_numIdEEEviPKiS4_PT2_S4_PiS4_S7_S7_d21rocsparse_index_base_imNS_24const_host_device_scalarIfEENS9_IdEENS9_IS5_EEb
    .private_segment_fixed_size: 16
    .sgpr_count:     38
    .sgpr_spill_count: 0
    .symbol:         _ZN9rocsparseL17csrilu0_binsearchILj256ELj64ELb1E21rocsparse_complex_numIdEEEviPKiS4_PT2_S4_PiS4_S7_S7_d21rocsparse_index_base_imNS_24const_host_device_scalarIfEENS9_IdEENS9_IS5_EEb.kd
    .uniform_work_group_size: 1
    .uses_dynamic_stack: false
    .vgpr_count:     39
    .vgpr_spill_count: 0
    .wavefront_size: 32
    .workgroup_processor_mode: 1
  - .args:
      - .offset:         0
        .size:           4
        .value_kind:     by_value
      - .address_space:  global
        .offset:         8
        .size:           8
        .value_kind:     global_buffer
      - .address_space:  global
        .offset:         16
        .size:           8
        .value_kind:     global_buffer
      - .address_space:  global
        .offset:         24
        .size:           8
        .value_kind:     global_buffer
      - .address_space:  global
        .offset:         32
        .size:           8
        .value_kind:     global_buffer
      - .address_space:  global
        .offset:         40
        .size:           8
        .value_kind:     global_buffer
      - .address_space:  global
        .offset:         48
        .size:           8
        .value_kind:     global_buffer
      - .address_space:  global
        .offset:         56
        .size:           8
        .value_kind:     global_buffer
      - .address_space:  global
        .offset:         64
        .size:           8
        .value_kind:     global_buffer
      - .offset:         72
        .size:           8
        .value_kind:     by_value
      - .offset:         80
        .size:           4
        .value_kind:     by_value
      - .offset:         84
        .size:           4
        .value_kind:     by_value
      - .offset:         88
        .size:           8
        .value_kind:     by_value
      - .offset:         96
        .size:           8
        .value_kind:     by_value
      - .offset:         104
        .size:           8
        .value_kind:     by_value
      - .offset:         112
        .size:           16
        .value_kind:     by_value
      - .offset:         128
        .size:           1
        .value_kind:     by_value
    .group_segment_fixed_size: 2048
    .kernarg_segment_align: 8
    .kernarg_segment_size: 132
    .language:       OpenCL C
    .language_version:
      - 2
      - 0
    .max_flat_workgroup_size: 256
    .name:           _ZN9rocsparseL12csrilu0_hashILj256ELj32ELj1E21rocsparse_complex_numIdEEEviPKiS4_PT2_S4_PiS4_S7_S7_d21rocsparse_index_base_imNS_24const_host_device_scalarIfEENS9_IdEENS9_IS5_EEb
    .private_segment_fixed_size: 16
    .sgpr_count:     45
    .sgpr_spill_count: 0
    .symbol:         _ZN9rocsparseL12csrilu0_hashILj256ELj32ELj1E21rocsparse_complex_numIdEEEviPKiS4_PT2_S4_PiS4_S7_S7_d21rocsparse_index_base_imNS_24const_host_device_scalarIfEENS9_IdEENS9_IS5_EEb.kd
    .uniform_work_group_size: 1
    .uses_dynamic_stack: false
    .vgpr_count:     40
    .vgpr_spill_count: 0
    .wavefront_size: 32
    .workgroup_processor_mode: 1
  - .args:
      - .offset:         0
        .size:           4
        .value_kind:     by_value
      - .address_space:  global
        .offset:         8
        .size:           8
        .value_kind:     global_buffer
      - .address_space:  global
        .offset:         16
        .size:           8
        .value_kind:     global_buffer
      - .address_space:  global
        .offset:         24
        .size:           8
        .value_kind:     global_buffer
      - .address_space:  global
        .offset:         32
        .size:           8
        .value_kind:     global_buffer
      - .address_space:  global
        .offset:         40
        .size:           8
        .value_kind:     global_buffer
      - .address_space:  global
        .offset:         48
        .size:           8
        .value_kind:     global_buffer
      - .address_space:  global
        .offset:         56
        .size:           8
        .value_kind:     global_buffer
      - .address_space:  global
        .offset:         64
        .size:           8
        .value_kind:     global_buffer
      - .offset:         72
        .size:           8
        .value_kind:     by_value
      - .offset:         80
        .size:           4
        .value_kind:     by_value
      - .offset:         84
        .size:           4
        .value_kind:     by_value
      - .offset:         88
        .size:           8
        .value_kind:     by_value
      - .offset:         96
        .size:           8
        .value_kind:     by_value
      - .offset:         104
        .size:           8
        .value_kind:     by_value
      - .offset:         112
        .size:           16
        .value_kind:     by_value
      - .offset:         128
        .size:           1
        .value_kind:     by_value
    .group_segment_fixed_size: 4096
    .kernarg_segment_align: 8
    .kernarg_segment_size: 132
    .language:       OpenCL C
    .language_version:
      - 2
      - 0
    .max_flat_workgroup_size: 256
    .name:           _ZN9rocsparseL12csrilu0_hashILj256ELj32ELj2E21rocsparse_complex_numIdEEEviPKiS4_PT2_S4_PiS4_S7_S7_d21rocsparse_index_base_imNS_24const_host_device_scalarIfEENS9_IdEENS9_IS5_EEb
    .private_segment_fixed_size: 16
    .sgpr_count:     45
    .sgpr_spill_count: 0
    .symbol:         _ZN9rocsparseL12csrilu0_hashILj256ELj32ELj2E21rocsparse_complex_numIdEEEviPKiS4_PT2_S4_PiS4_S7_S7_d21rocsparse_index_base_imNS_24const_host_device_scalarIfEENS9_IdEENS9_IS5_EEb.kd
    .uniform_work_group_size: 1
    .uses_dynamic_stack: false
    .vgpr_count:     40
    .vgpr_spill_count: 0
    .wavefront_size: 32
    .workgroup_processor_mode: 1
  - .args:
      - .offset:         0
        .size:           4
        .value_kind:     by_value
      - .address_space:  global
        .offset:         8
        .size:           8
        .value_kind:     global_buffer
      - .address_space:  global
        .offset:         16
        .size:           8
        .value_kind:     global_buffer
      - .address_space:  global
        .offset:         24
        .size:           8
        .value_kind:     global_buffer
      - .address_space:  global
        .offset:         32
        .size:           8
        .value_kind:     global_buffer
      - .address_space:  global
        .offset:         40
        .size:           8
        .value_kind:     global_buffer
      - .address_space:  global
        .offset:         48
        .size:           8
        .value_kind:     global_buffer
      - .address_space:  global
        .offset:         56
        .size:           8
        .value_kind:     global_buffer
      - .address_space:  global
        .offset:         64
        .size:           8
        .value_kind:     global_buffer
      - .offset:         72
        .size:           8
        .value_kind:     by_value
      - .offset:         80
        .size:           4
        .value_kind:     by_value
      - .offset:         84
        .size:           4
        .value_kind:     by_value
      - .offset:         88
        .size:           8
        .value_kind:     by_value
      - .offset:         96
        .size:           8
        .value_kind:     by_value
      - .offset:         104
        .size:           8
        .value_kind:     by_value
      - .offset:         112
        .size:           16
        .value_kind:     by_value
      - .offset:         128
        .size:           1
        .value_kind:     by_value
    .group_segment_fixed_size: 8192
    .kernarg_segment_align: 8
    .kernarg_segment_size: 132
    .language:       OpenCL C
    .language_version:
      - 2
      - 0
    .max_flat_workgroup_size: 256
    .name:           _ZN9rocsparseL12csrilu0_hashILj256ELj32ELj4E21rocsparse_complex_numIdEEEviPKiS4_PT2_S4_PiS4_S7_S7_d21rocsparse_index_base_imNS_24const_host_device_scalarIfEENS9_IdEENS9_IS5_EEb
    .private_segment_fixed_size: 16
    .sgpr_count:     45
    .sgpr_spill_count: 0
    .symbol:         _ZN9rocsparseL12csrilu0_hashILj256ELj32ELj4E21rocsparse_complex_numIdEEEviPKiS4_PT2_S4_PiS4_S7_S7_d21rocsparse_index_base_imNS_24const_host_device_scalarIfEENS9_IdEENS9_IS5_EEb.kd
    .uniform_work_group_size: 1
    .uses_dynamic_stack: false
    .vgpr_count:     40
    .vgpr_spill_count: 0
    .wavefront_size: 32
    .workgroup_processor_mode: 1
  - .args:
      - .offset:         0
        .size:           4
        .value_kind:     by_value
      - .address_space:  global
        .offset:         8
        .size:           8
        .value_kind:     global_buffer
      - .address_space:  global
        .offset:         16
        .size:           8
        .value_kind:     global_buffer
      - .address_space:  global
        .offset:         24
        .size:           8
        .value_kind:     global_buffer
      - .address_space:  global
        .offset:         32
        .size:           8
        .value_kind:     global_buffer
      - .address_space:  global
        .offset:         40
        .size:           8
        .value_kind:     global_buffer
      - .address_space:  global
        .offset:         48
        .size:           8
        .value_kind:     global_buffer
      - .address_space:  global
        .offset:         56
        .size:           8
        .value_kind:     global_buffer
      - .address_space:  global
        .offset:         64
        .size:           8
        .value_kind:     global_buffer
      - .offset:         72
        .size:           8
        .value_kind:     by_value
      - .offset:         80
        .size:           4
        .value_kind:     by_value
      - .offset:         84
        .size:           4
        .value_kind:     by_value
      - .offset:         88
        .size:           8
        .value_kind:     by_value
      - .offset:         96
        .size:           8
        .value_kind:     by_value
      - .offset:         104
        .size:           8
        .value_kind:     by_value
      - .offset:         112
        .size:           16
        .value_kind:     by_value
      - .offset:         128
        .size:           1
        .value_kind:     by_value
    .group_segment_fixed_size: 16384
    .kernarg_segment_align: 8
    .kernarg_segment_size: 132
    .language:       OpenCL C
    .language_version:
      - 2
      - 0
    .max_flat_workgroup_size: 256
    .name:           _ZN9rocsparseL12csrilu0_hashILj256ELj32ELj8E21rocsparse_complex_numIdEEEviPKiS4_PT2_S4_PiS4_S7_S7_d21rocsparse_index_base_imNS_24const_host_device_scalarIfEENS9_IdEENS9_IS5_EEb
    .private_segment_fixed_size: 16
    .sgpr_count:     45
    .sgpr_spill_count: 0
    .symbol:         _ZN9rocsparseL12csrilu0_hashILj256ELj32ELj8E21rocsparse_complex_numIdEEEviPKiS4_PT2_S4_PiS4_S7_S7_d21rocsparse_index_base_imNS_24const_host_device_scalarIfEENS9_IdEENS9_IS5_EEb.kd
    .uniform_work_group_size: 1
    .uses_dynamic_stack: false
    .vgpr_count:     40
    .vgpr_spill_count: 0
    .wavefront_size: 32
    .workgroup_processor_mode: 1
  - .args:
      - .offset:         0
        .size:           4
        .value_kind:     by_value
      - .address_space:  global
        .offset:         8
        .size:           8
        .value_kind:     global_buffer
      - .address_space:  global
        .offset:         16
        .size:           8
        .value_kind:     global_buffer
      - .address_space:  global
        .offset:         24
        .size:           8
        .value_kind:     global_buffer
      - .address_space:  global
        .offset:         32
        .size:           8
        .value_kind:     global_buffer
      - .address_space:  global
        .offset:         40
        .size:           8
        .value_kind:     global_buffer
      - .address_space:  global
        .offset:         48
        .size:           8
        .value_kind:     global_buffer
      - .address_space:  global
        .offset:         56
        .size:           8
        .value_kind:     global_buffer
      - .address_space:  global
        .offset:         64
        .size:           8
        .value_kind:     global_buffer
      - .offset:         72
        .size:           8
        .value_kind:     by_value
      - .offset:         80
        .size:           4
        .value_kind:     by_value
      - .offset:         84
        .size:           4
        .value_kind:     by_value
      - .offset:         88
        .size:           8
        .value_kind:     by_value
      - .offset:         96
        .size:           8
        .value_kind:     by_value
      - .offset:         104
        .size:           8
        .value_kind:     by_value
      - .offset:         112
        .size:           16
        .value_kind:     by_value
      - .offset:         128
        .size:           1
        .value_kind:     by_value
    .group_segment_fixed_size: 32768
    .kernarg_segment_align: 8
    .kernarg_segment_size: 132
    .language:       OpenCL C
    .language_version:
      - 2
      - 0
    .max_flat_workgroup_size: 256
    .name:           _ZN9rocsparseL12csrilu0_hashILj256ELj32ELj16E21rocsparse_complex_numIdEEEviPKiS4_PT2_S4_PiS4_S7_S7_d21rocsparse_index_base_imNS_24const_host_device_scalarIfEENS9_IdEENS9_IS5_EEb
    .private_segment_fixed_size: 16
    .sgpr_count:     45
    .sgpr_spill_count: 0
    .symbol:         _ZN9rocsparseL12csrilu0_hashILj256ELj32ELj16E21rocsparse_complex_numIdEEEviPKiS4_PT2_S4_PiS4_S7_S7_d21rocsparse_index_base_imNS_24const_host_device_scalarIfEENS9_IdEENS9_IS5_EEb.kd
    .uniform_work_group_size: 1
    .uses_dynamic_stack: false
    .vgpr_count:     40
    .vgpr_spill_count: 0
    .wavefront_size: 32
    .workgroup_processor_mode: 1
  - .args:
      - .offset:         0
        .size:           4
        .value_kind:     by_value
      - .address_space:  global
        .offset:         8
        .size:           8
        .value_kind:     global_buffer
      - .address_space:  global
        .offset:         16
        .size:           8
        .value_kind:     global_buffer
      - .address_space:  global
        .offset:         24
        .size:           8
        .value_kind:     global_buffer
      - .address_space:  global
        .offset:         32
        .size:           8
        .value_kind:     global_buffer
      - .address_space:  global
        .offset:         40
        .size:           8
        .value_kind:     global_buffer
      - .address_space:  global
        .offset:         48
        .size:           8
        .value_kind:     global_buffer
      - .address_space:  global
        .offset:         56
        .size:           8
        .value_kind:     global_buffer
      - .address_space:  global
        .offset:         64
        .size:           8
        .value_kind:     global_buffer
      - .offset:         72
        .size:           8
        .value_kind:     by_value
      - .offset:         80
        .size:           4
        .value_kind:     by_value
      - .offset:         84
        .size:           4
        .value_kind:     by_value
      - .offset:         88
        .size:           8
        .value_kind:     by_value
      - .offset:         96
        .size:           8
        .value_kind:     by_value
      - .offset:         104
        .size:           8
        .value_kind:     by_value
      - .offset:         112
        .size:           16
        .value_kind:     by_value
      - .offset:         128
        .size:           1
        .value_kind:     by_value
    .group_segment_fixed_size: 0
    .kernarg_segment_align: 8
    .kernarg_segment_size: 132
    .language:       OpenCL C
    .language_version:
      - 2
      - 0
    .max_flat_workgroup_size: 256
    .name:           _ZN9rocsparseL17csrilu0_binsearchILj256ELj32ELb0E21rocsparse_complex_numIdEEEviPKiS4_PT2_S4_PiS4_S7_S7_d21rocsparse_index_base_imNS_24const_host_device_scalarIfEENS9_IdEENS9_IS5_EEb
    .private_segment_fixed_size: 16
    .sgpr_count:     38
    .sgpr_spill_count: 0
    .symbol:         _ZN9rocsparseL17csrilu0_binsearchILj256ELj32ELb0E21rocsparse_complex_numIdEEEviPKiS4_PT2_S4_PiS4_S7_S7_d21rocsparse_index_base_imNS_24const_host_device_scalarIfEENS9_IdEENS9_IS5_EEb.kd
    .uniform_work_group_size: 1
    .uses_dynamic_stack: false
    .vgpr_count:     39
    .vgpr_spill_count: 0
    .wavefront_size: 32
    .workgroup_processor_mode: 1
  - .args:
      - .offset:         0
        .size:           4
        .value_kind:     by_value
      - .address_space:  global
        .offset:         8
        .size:           8
        .value_kind:     global_buffer
      - .address_space:  global
        .offset:         16
        .size:           8
        .value_kind:     global_buffer
      - .address_space:  global
        .offset:         24
        .size:           8
        .value_kind:     global_buffer
      - .address_space:  global
        .offset:         32
        .size:           8
        .value_kind:     global_buffer
      - .address_space:  global
        .offset:         40
        .size:           8
        .value_kind:     global_buffer
      - .address_space:  global
        .offset:         48
        .size:           8
        .value_kind:     global_buffer
      - .address_space:  global
        .offset:         56
        .size:           8
        .value_kind:     global_buffer
      - .address_space:  global
        .offset:         64
        .size:           8
        .value_kind:     global_buffer
      - .offset:         72
        .size:           8
        .value_kind:     by_value
      - .offset:         80
        .size:           4
        .value_kind:     by_value
      - .offset:         84
        .size:           4
        .value_kind:     by_value
      - .offset:         88
        .size:           8
        .value_kind:     by_value
      - .offset:         96
        .size:           8
        .value_kind:     by_value
      - .offset:         104
        .size:           8
        .value_kind:     by_value
      - .offset:         112
        .size:           16
        .value_kind:     by_value
      - .offset:         128
        .size:           1
        .value_kind:     by_value
    .group_segment_fixed_size: 2048
    .kernarg_segment_align: 8
    .kernarg_segment_size: 132
    .language:       OpenCL C
    .language_version:
      - 2
      - 0
    .max_flat_workgroup_size: 256
    .name:           _ZN9rocsparseL12csrilu0_hashILj256ELj64ELj1E21rocsparse_complex_numIdEEEviPKiS4_PT2_S4_PiS4_S7_S7_d21rocsparse_index_base_imNS_24const_host_device_scalarIfEENS9_IdEENS9_IS5_EEb
    .private_segment_fixed_size: 16
    .sgpr_count:     45
    .sgpr_spill_count: 0
    .symbol:         _ZN9rocsparseL12csrilu0_hashILj256ELj64ELj1E21rocsparse_complex_numIdEEEviPKiS4_PT2_S4_PiS4_S7_S7_d21rocsparse_index_base_imNS_24const_host_device_scalarIfEENS9_IdEENS9_IS5_EEb.kd
    .uniform_work_group_size: 1
    .uses_dynamic_stack: false
    .vgpr_count:     40
    .vgpr_spill_count: 0
    .wavefront_size: 32
    .workgroup_processor_mode: 1
  - .args:
      - .offset:         0
        .size:           4
        .value_kind:     by_value
      - .address_space:  global
        .offset:         8
        .size:           8
        .value_kind:     global_buffer
      - .address_space:  global
        .offset:         16
        .size:           8
        .value_kind:     global_buffer
      - .address_space:  global
        .offset:         24
        .size:           8
        .value_kind:     global_buffer
      - .address_space:  global
        .offset:         32
        .size:           8
        .value_kind:     global_buffer
      - .address_space:  global
        .offset:         40
        .size:           8
        .value_kind:     global_buffer
      - .address_space:  global
        .offset:         48
        .size:           8
        .value_kind:     global_buffer
      - .address_space:  global
        .offset:         56
        .size:           8
        .value_kind:     global_buffer
      - .address_space:  global
        .offset:         64
        .size:           8
        .value_kind:     global_buffer
      - .offset:         72
        .size:           8
        .value_kind:     by_value
      - .offset:         80
        .size:           4
        .value_kind:     by_value
      - .offset:         84
        .size:           4
        .value_kind:     by_value
      - .offset:         88
        .size:           8
        .value_kind:     by_value
      - .offset:         96
        .size:           8
        .value_kind:     by_value
      - .offset:         104
        .size:           8
        .value_kind:     by_value
      - .offset:         112
        .size:           16
        .value_kind:     by_value
      - .offset:         128
        .size:           1
        .value_kind:     by_value
    .group_segment_fixed_size: 4096
    .kernarg_segment_align: 8
    .kernarg_segment_size: 132
    .language:       OpenCL C
    .language_version:
      - 2
      - 0
    .max_flat_workgroup_size: 256
    .name:           _ZN9rocsparseL12csrilu0_hashILj256ELj64ELj2E21rocsparse_complex_numIdEEEviPKiS4_PT2_S4_PiS4_S7_S7_d21rocsparse_index_base_imNS_24const_host_device_scalarIfEENS9_IdEENS9_IS5_EEb
    .private_segment_fixed_size: 16
    .sgpr_count:     45
    .sgpr_spill_count: 0
    .symbol:         _ZN9rocsparseL12csrilu0_hashILj256ELj64ELj2E21rocsparse_complex_numIdEEEviPKiS4_PT2_S4_PiS4_S7_S7_d21rocsparse_index_base_imNS_24const_host_device_scalarIfEENS9_IdEENS9_IS5_EEb.kd
    .uniform_work_group_size: 1
    .uses_dynamic_stack: false
    .vgpr_count:     40
    .vgpr_spill_count: 0
    .wavefront_size: 32
    .workgroup_processor_mode: 1
  - .args:
      - .offset:         0
        .size:           4
        .value_kind:     by_value
      - .address_space:  global
        .offset:         8
        .size:           8
        .value_kind:     global_buffer
      - .address_space:  global
        .offset:         16
        .size:           8
        .value_kind:     global_buffer
      - .address_space:  global
        .offset:         24
        .size:           8
        .value_kind:     global_buffer
      - .address_space:  global
        .offset:         32
        .size:           8
        .value_kind:     global_buffer
      - .address_space:  global
        .offset:         40
        .size:           8
        .value_kind:     global_buffer
      - .address_space:  global
        .offset:         48
        .size:           8
        .value_kind:     global_buffer
      - .address_space:  global
        .offset:         56
        .size:           8
        .value_kind:     global_buffer
      - .address_space:  global
        .offset:         64
        .size:           8
        .value_kind:     global_buffer
      - .offset:         72
        .size:           8
        .value_kind:     by_value
      - .offset:         80
        .size:           4
        .value_kind:     by_value
      - .offset:         84
        .size:           4
        .value_kind:     by_value
      - .offset:         88
        .size:           8
        .value_kind:     by_value
      - .offset:         96
        .size:           8
        .value_kind:     by_value
      - .offset:         104
        .size:           8
        .value_kind:     by_value
      - .offset:         112
        .size:           16
        .value_kind:     by_value
      - .offset:         128
        .size:           1
        .value_kind:     by_value
    .group_segment_fixed_size: 8192
    .kernarg_segment_align: 8
    .kernarg_segment_size: 132
    .language:       OpenCL C
    .language_version:
      - 2
      - 0
    .max_flat_workgroup_size: 256
    .name:           _ZN9rocsparseL12csrilu0_hashILj256ELj64ELj4E21rocsparse_complex_numIdEEEviPKiS4_PT2_S4_PiS4_S7_S7_d21rocsparse_index_base_imNS_24const_host_device_scalarIfEENS9_IdEENS9_IS5_EEb
    .private_segment_fixed_size: 16
    .sgpr_count:     45
    .sgpr_spill_count: 0
    .symbol:         _ZN9rocsparseL12csrilu0_hashILj256ELj64ELj4E21rocsparse_complex_numIdEEEviPKiS4_PT2_S4_PiS4_S7_S7_d21rocsparse_index_base_imNS_24const_host_device_scalarIfEENS9_IdEENS9_IS5_EEb.kd
    .uniform_work_group_size: 1
    .uses_dynamic_stack: false
    .vgpr_count:     40
    .vgpr_spill_count: 0
    .wavefront_size: 32
    .workgroup_processor_mode: 1
  - .args:
      - .offset:         0
        .size:           4
        .value_kind:     by_value
      - .address_space:  global
        .offset:         8
        .size:           8
        .value_kind:     global_buffer
      - .address_space:  global
        .offset:         16
        .size:           8
        .value_kind:     global_buffer
      - .address_space:  global
        .offset:         24
        .size:           8
        .value_kind:     global_buffer
      - .address_space:  global
        .offset:         32
        .size:           8
        .value_kind:     global_buffer
      - .address_space:  global
        .offset:         40
        .size:           8
        .value_kind:     global_buffer
      - .address_space:  global
        .offset:         48
        .size:           8
        .value_kind:     global_buffer
      - .address_space:  global
        .offset:         56
        .size:           8
        .value_kind:     global_buffer
      - .address_space:  global
        .offset:         64
        .size:           8
        .value_kind:     global_buffer
      - .offset:         72
        .size:           8
        .value_kind:     by_value
      - .offset:         80
        .size:           4
        .value_kind:     by_value
      - .offset:         84
        .size:           4
        .value_kind:     by_value
      - .offset:         88
        .size:           8
        .value_kind:     by_value
      - .offset:         96
        .size:           8
        .value_kind:     by_value
      - .offset:         104
        .size:           8
        .value_kind:     by_value
      - .offset:         112
        .size:           16
        .value_kind:     by_value
      - .offset:         128
        .size:           1
        .value_kind:     by_value
    .group_segment_fixed_size: 16384
    .kernarg_segment_align: 8
    .kernarg_segment_size: 132
    .language:       OpenCL C
    .language_version:
      - 2
      - 0
    .max_flat_workgroup_size: 256
    .name:           _ZN9rocsparseL12csrilu0_hashILj256ELj64ELj8E21rocsparse_complex_numIdEEEviPKiS4_PT2_S4_PiS4_S7_S7_d21rocsparse_index_base_imNS_24const_host_device_scalarIfEENS9_IdEENS9_IS5_EEb
    .private_segment_fixed_size: 16
    .sgpr_count:     45
    .sgpr_spill_count: 0
    .symbol:         _ZN9rocsparseL12csrilu0_hashILj256ELj64ELj8E21rocsparse_complex_numIdEEEviPKiS4_PT2_S4_PiS4_S7_S7_d21rocsparse_index_base_imNS_24const_host_device_scalarIfEENS9_IdEENS9_IS5_EEb.kd
    .uniform_work_group_size: 1
    .uses_dynamic_stack: false
    .vgpr_count:     40
    .vgpr_spill_count: 0
    .wavefront_size: 32
    .workgroup_processor_mode: 1
  - .args:
      - .offset:         0
        .size:           4
        .value_kind:     by_value
      - .address_space:  global
        .offset:         8
        .size:           8
        .value_kind:     global_buffer
      - .address_space:  global
        .offset:         16
        .size:           8
        .value_kind:     global_buffer
      - .address_space:  global
        .offset:         24
        .size:           8
        .value_kind:     global_buffer
      - .address_space:  global
        .offset:         32
        .size:           8
        .value_kind:     global_buffer
      - .address_space:  global
        .offset:         40
        .size:           8
        .value_kind:     global_buffer
      - .address_space:  global
        .offset:         48
        .size:           8
        .value_kind:     global_buffer
      - .address_space:  global
        .offset:         56
        .size:           8
        .value_kind:     global_buffer
      - .address_space:  global
        .offset:         64
        .size:           8
        .value_kind:     global_buffer
      - .offset:         72
        .size:           8
        .value_kind:     by_value
      - .offset:         80
        .size:           4
        .value_kind:     by_value
      - .offset:         84
        .size:           4
        .value_kind:     by_value
      - .offset:         88
        .size:           8
        .value_kind:     by_value
      - .offset:         96
        .size:           8
        .value_kind:     by_value
      - .offset:         104
        .size:           8
        .value_kind:     by_value
      - .offset:         112
        .size:           16
        .value_kind:     by_value
      - .offset:         128
        .size:           1
        .value_kind:     by_value
    .group_segment_fixed_size: 32768
    .kernarg_segment_align: 8
    .kernarg_segment_size: 132
    .language:       OpenCL C
    .language_version:
      - 2
      - 0
    .max_flat_workgroup_size: 256
    .name:           _ZN9rocsparseL12csrilu0_hashILj256ELj64ELj16E21rocsparse_complex_numIdEEEviPKiS4_PT2_S4_PiS4_S7_S7_d21rocsparse_index_base_imNS_24const_host_device_scalarIfEENS9_IdEENS9_IS5_EEb
    .private_segment_fixed_size: 16
    .sgpr_count:     45
    .sgpr_spill_count: 0
    .symbol:         _ZN9rocsparseL12csrilu0_hashILj256ELj64ELj16E21rocsparse_complex_numIdEEEviPKiS4_PT2_S4_PiS4_S7_S7_d21rocsparse_index_base_imNS_24const_host_device_scalarIfEENS9_IdEENS9_IS5_EEb.kd
    .uniform_work_group_size: 1
    .uses_dynamic_stack: false
    .vgpr_count:     40
    .vgpr_spill_count: 0
    .wavefront_size: 32
    .workgroup_processor_mode: 1
  - .args:
      - .offset:         0
        .size:           4
        .value_kind:     by_value
      - .address_space:  global
        .offset:         8
        .size:           8
        .value_kind:     global_buffer
      - .address_space:  global
        .offset:         16
        .size:           8
        .value_kind:     global_buffer
      - .address_space:  global
        .offset:         24
        .size:           8
        .value_kind:     global_buffer
      - .address_space:  global
        .offset:         32
        .size:           8
        .value_kind:     global_buffer
      - .address_space:  global
        .offset:         40
        .size:           8
        .value_kind:     global_buffer
      - .address_space:  global
        .offset:         48
        .size:           8
        .value_kind:     global_buffer
      - .address_space:  global
        .offset:         56
        .size:           8
        .value_kind:     global_buffer
      - .address_space:  global
        .offset:         64
        .size:           8
        .value_kind:     global_buffer
      - .offset:         72
        .size:           8
        .value_kind:     by_value
      - .offset:         80
        .size:           4
        .value_kind:     by_value
      - .offset:         84
        .size:           4
        .value_kind:     by_value
      - .offset:         88
        .size:           8
        .value_kind:     by_value
      - .offset:         96
        .size:           8
        .value_kind:     by_value
      - .offset:         104
        .size:           8
        .value_kind:     by_value
      - .offset:         112
        .size:           16
        .value_kind:     by_value
      - .offset:         128
        .size:           1
        .value_kind:     by_value
    .group_segment_fixed_size: 0
    .kernarg_segment_align: 8
    .kernarg_segment_size: 132
    .language:       OpenCL C
    .language_version:
      - 2
      - 0
    .max_flat_workgroup_size: 256
    .name:           _ZN9rocsparseL17csrilu0_binsearchILj256ELj64ELb0E21rocsparse_complex_numIdEEEviPKiS4_PT2_S4_PiS4_S7_S7_d21rocsparse_index_base_imNS_24const_host_device_scalarIfEENS9_IdEENS9_IS5_EEb
    .private_segment_fixed_size: 16
    .sgpr_count:     38
    .sgpr_spill_count: 0
    .symbol:         _ZN9rocsparseL17csrilu0_binsearchILj256ELj64ELb0E21rocsparse_complex_numIdEEEviPKiS4_PT2_S4_PiS4_S7_S7_d21rocsparse_index_base_imNS_24const_host_device_scalarIfEENS9_IdEENS9_IS5_EEb.kd
    .uniform_work_group_size: 1
    .uses_dynamic_stack: false
    .vgpr_count:     39
    .vgpr_spill_count: 0
    .wavefront_size: 32
    .workgroup_processor_mode: 1
amdhsa.target:   amdgcn-amd-amdhsa--gfx1030
amdhsa.version:
  - 1
  - 2
...

	.end_amdgpu_metadata
